;; amdgpu-corpus repo=ROCm/rocFFT kind=compiled arch=gfx950 opt=O3
	.text
	.amdgcn_target "amdgcn-amd-amdhsa--gfx950"
	.amdhsa_code_object_version 6
	.protected	bluestein_single_back_len1625_dim1_dp_op_CI_CI ; -- Begin function bluestein_single_back_len1625_dim1_dp_op_CI_CI
	.globl	bluestein_single_back_len1625_dim1_dp_op_CI_CI
	.p2align	8
	.type	bluestein_single_back_len1625_dim1_dp_op_CI_CI,@function
bluestein_single_back_len1625_dim1_dp_op_CI_CI: ; @bluestein_single_back_len1625_dim1_dp_op_CI_CI
; %bb.0:
	s_load_dwordx4 s[4:7], s[0:1], 0x28
	v_mul_u32_u24_e32 v1, 0x3f1, v0
	v_lshrrev_b32_e32 v24, 16, v1
	v_mov_b32_e32 v195, 0
	v_lshl_add_u32 v6, s2, 1, v24
	v_mov_b32_e32 v7, v195
	s_waitcnt lgkmcnt(0)
	v_cmp_gt_u64_e32 vcc, s[4:5], v[6:7]
	s_and_saveexec_b64 s[2:3], vcc
	s_cbranch_execz .LBB0_15
; %bb.1:
	s_load_dwordx4 s[12:15], s[0:1], 0x18
	s_load_dwordx2 s[16:17], s[0:1], 0x0
	v_mul_lo_u16_e32 v1, 0x41, v24
	v_sub_u16_e32 v194, v0, v1
	v_accvgpr_write_b32 a2, v6
	s_waitcnt lgkmcnt(0)
	s_load_dwordx4 s[8:11], s[12:13], 0x0
	v_mov_b32_e32 v2, s6
	v_mov_b32_e32 v3, s7
	v_lshlrev_b32_e32 v20, 4, v194
	global_load_dwordx4 v[72:75], v20, s[16:17]
	s_waitcnt lgkmcnt(0)
	v_mad_u64_u32 v[0:1], s[2:3], s10, v6, 0
	v_mov_b32_e32 v4, v1
	v_mad_u64_u32 v[4:5], s[2:3], s11, v6, v[4:5]
	v_mov_b32_e32 v1, v4
	;; [unrolled: 2-line block ×3, first 2 shown]
	v_mad_u64_u32 v[6:7], s[2:3], s9, v194, v[6:7]
	s_mul_i32 s2, s9, 0x7d
	s_mul_hi_u32 s3, s8, 0x7d
	v_mov_b32_e32 v5, v6
	v_lshl_add_u64 v[0:1], v[0:1], 4, v[2:3]
	s_add_i32 s3, s3, s2
	s_mul_i32 s2, s8, 0x7d
	v_lshl_add_u64 v[8:9], v[4:5], 4, v[0:1]
	s_lshl_b64 s[12:13], s[2:3], 4
	v_lshl_add_u64 v[10:11], v[8:9], 0, s[12:13]
	global_load_dwordx4 v[4:7], v[8:9], off
	global_load_dwordx4 v[0:3], v[10:11], off
	global_load_dwordx4 v[88:91], v20, s[16:17] offset:2000
	v_mov_b32_e32 v21, v195
	v_lshl_add_u64 v[16:17], v[10:11], 0, s[12:13]
	global_load_dwordx4 v[76:79], v20, s[16:17] offset:4000
	v_lshl_add_u64 v[144:145], s[16:17], 0, v[20:21]
	v_lshl_add_u64 v[18:19], v[16:17], 0, s[12:13]
	global_load_dwordx4 v[12:15], v[16:17], off
	global_load_dwordx4 v[8:11], v[18:19], off
	s_movk_i32 s2, 0x1000
	v_add_co_u32_e32 v28, vcc, s2, v144
	v_lshl_add_u64 v[22:23], v[18:19], 0, s[12:13]
	s_nop 0
	v_addc_co_u32_e32 v29, vcc, 0, v145, vcc
	global_load_dwordx4 v[16:19], v[22:23], off
	global_load_dwordx4 v[108:111], v[28:29], off offset:1904
	global_load_dwordx4 v[80:83], v[28:29], off offset:3904
	v_lshl_add_u64 v[22:23], v[22:23], 0, s[12:13]
	s_movk_i32 s2, 0x2000
	global_load_dwordx4 v[40:43], v[22:23], off
	v_add_co_u32_e32 v32, vcc, s2, v144
	v_lshl_add_u64 v[22:23], v[22:23], 0, s[12:13]
	s_nop 0
	v_addc_co_u32_e32 v33, vcc, 0, v145, vcc
	global_load_dwordx4 v[44:47], v[22:23], off
	global_load_dwordx4 v[112:115], v[32:33], off offset:1808
	global_load_dwordx4 v[84:87], v[32:33], off offset:3808
	v_lshl_add_u64 v[22:23], v[22:23], 0, s[12:13]
	s_movk_i32 s2, 0x3000
	global_load_dwordx4 v[48:51], v[22:23], off
	;; [unrolled: 10-line block ×3, first 2 shown]
	v_add_co_u32_e32 v36, vcc, s2, v144
	s_movk_i32 s2, 0x5000
	s_nop 0
	v_addc_co_u32_e32 v37, vcc, 0, v145, vcc
	v_lshl_add_u64 v[22:23], v[22:23], 0, s[12:13]
	global_load_dwordx4 v[120:123], v[36:37], off offset:1616
	global_load_dwordx4 v[60:63], v[22:23], off
	global_load_dwordx4 v[96:99], v[36:37], off offset:3616
	v_add_co_u32_e32 v38, vcc, s2, v144
	v_lshl_add_u64 v[22:23], v[22:23], 0, s[12:13]
	s_nop 0
	v_addc_co_u32_e32 v39, vcc, 0, v145, vcc
	global_load_dwordx4 v[64:67], v[22:23], off
	global_load_dwordx4 v[100:103], v[38:39], off offset:1520
	v_lshl_add_u64 v[22:23], v[22:23], 0, s[12:13]
	global_load_dwordx4 v[68:71], v[22:23], off
	global_load_dwordx4 v[104:107], v[38:39], off offset:3520
	v_and_b32_e32 v21, 1, v24
	v_mov_b32_e32 v24, 0x659
	v_cmp_eq_u32_e32 vcc, 1, v21
	s_load_dwordx2 s[10:11], s[0:1], 0x38
	s_load_dwordx4 s[4:7], s[14:15], 0x0
	v_cndmask_b32_e32 v21, 0, v24, vcc
	v_lshlrev_b32_e32 v196, 4, v21
	v_add_u32_e32 v182, v196, v20
	v_cmp_gt_u16_e32 vcc, 60, v194
	s_waitcnt vmcnt(25)
	v_accvgpr_write_b32 a4, v72
	v_accvgpr_write_b32 a5, v73
	;; [unrolled: 1-line block ×4, first 2 shown]
	s_waitcnt vmcnt(24)
	v_mul_f64 v[24:25], v[6:7], v[74:75]
	v_fmac_f64_e32 v[24:25], v[4:5], v[72:73]
	v_mul_f64 v[4:5], v[4:5], v[74:75]
	v_fma_f64 v[26:27], v[6:7], v[72:73], -v[4:5]
	s_waitcnt vmcnt(22)
	v_mul_f64 v[4:5], v[2:3], v[90:91]
	v_fmac_f64_e32 v[4:5], v[0:1], v[88:89]
	v_mul_f64 v[0:1], v[0:1], v[90:91]
	v_fma_f64 v[6:7], v[2:3], v[88:89], -v[0:1]
	s_waitcnt vmcnt(20)
	v_mul_f64 v[0:1], v[14:15], v[78:79]
	v_mul_f64 v[2:3], v[12:13], v[78:79]
	v_fmac_f64_e32 v[0:1], v[12:13], v[76:77]
	v_fma_f64 v[2:3], v[14:15], v[76:77], -v[2:3]
	ds_write_b128 v182, v[0:3] offset:4000
	v_accvgpr_write_b32 a20, v88
	s_waitcnt vmcnt(17)
	v_mul_f64 v[0:1], v[10:11], v[110:111]
	v_mul_f64 v[2:3], v[8:9], v[110:111]
	v_fmac_f64_e32 v[0:1], v[8:9], v[108:109]
	v_fma_f64 v[2:3], v[10:11], v[108:109], -v[2:3]
	ds_write_b128 v182, v[0:3] offset:6000
	s_waitcnt vmcnt(16)
	v_mul_f64 v[0:1], v[18:19], v[82:83]
	v_mul_f64 v[2:3], v[16:17], v[82:83]
	v_fmac_f64_e32 v[0:1], v[16:17], v[80:81]
	v_fma_f64 v[2:3], v[18:19], v[80:81], -v[2:3]
	ds_write_b128 v182, v[0:3] offset:8000
	;; [unrolled: 6-line block ×8, first 2 shown]
	s_waitcnt vmcnt(2)
	v_mul_f64 v[0:1], v[66:67], v[102:103]
	v_mul_f64 v[2:3], v[64:65], v[102:103]
	v_fmac_f64_e32 v[0:1], v[64:65], v[100:101]
	v_fma_f64 v[2:3], v[66:67], v[100:101], -v[2:3]
	v_accvgpr_write_b32 a8, v76
	v_accvgpr_write_b32 a40, v108
	;; [unrolled: 1-line block ×10, first 2 shown]
	ds_write_b128 v182, v[0:3] offset:22000
	s_waitcnt vmcnt(0)
	v_mul_f64 v[0:1], v[70:71], v[106:107]
	v_mul_f64 v[2:3], v[68:69], v[106:107]
	v_accvgpr_write_b32 a36, v104
	v_accvgpr_write_b32 a21, v89
	;; [unrolled: 1-line block ×34, first 2 shown]
	v_fmac_f64_e32 v[0:1], v[68:69], v[104:105]
	v_accvgpr_write_b32 a37, v105
	v_accvgpr_write_b32 a38, v106
	;; [unrolled: 1-line block ×3, first 2 shown]
	v_fma_f64 v[2:3], v[70:71], v[104:105], -v[2:3]
	ds_write_b128 v182, v[24:27]
	ds_write_b128 v182, v[4:7] offset:2000
	ds_write_b128 v182, v[0:3] offset:24000
	s_and_saveexec_b64 s[14:15], vcc
	s_cbranch_execz .LBB0_3
; %bb.2:
	v_mov_b32_e32 v0, 0xffffa650
	v_mad_u64_u32 v[8:9], s[2:3], s8, v0, v[22:23]
	s_mul_i32 s2, s9, 0xffffa650
	s_sub_i32 s2, s2, s8
	v_add_u32_e32 v9, s2, v9
	global_load_dwordx4 v[0:3], v[8:9], off
	global_load_dwordx4 v[4:7], v[144:145], off offset:1040
	v_lshl_add_u64 v[16:17], v[8:9], 0, s[12:13]
	global_load_dwordx4 v[8:11], v[16:17], off
	global_load_dwordx4 v[12:15], v[144:145], off offset:3040
	v_lshl_add_u64 v[30:31], v[16:17], 0, s[12:13]
	v_lshl_add_u64 v[40:41], v[30:31], 0, s[12:13]
	global_load_dwordx4 v[16:19], v[30:31], off
	global_load_dwordx4 v[20:23], v[28:29], off offset:944
	global_load_dwordx4 v[24:27], v[28:29], off offset:2944
	v_lshl_add_u64 v[52:53], v[40:41], 0, s[12:13]
	global_load_dwordx4 v[28:31], v[40:41], off
	s_nop 0
	global_load_dwordx4 v[40:43], v[52:53], off
	global_load_dwordx4 v[44:47], v[32:33], off offset:848
	global_load_dwordx4 v[48:51], v[32:33], off offset:2848
	v_lshl_add_u64 v[32:33], v[52:53], 0, s[12:13]
	global_load_dwordx4 v[52:55], v[32:33], off
	v_lshl_add_u64 v[32:33], v[32:33], 0, s[12:13]
	v_lshl_add_u64 v[68:69], v[32:33], 0, s[12:13]
	global_load_dwordx4 v[56:59], v[32:33], off
	global_load_dwordx4 v[60:63], v[34:35], off offset:752
	global_load_dwordx4 v[64:67], v[34:35], off offset:2752
	v_lshl_add_u64 v[80:81], v[68:69], 0, s[12:13]
	global_load_dwordx4 v[32:35], v[68:69], off
	s_nop 0
	global_load_dwordx4 v[68:71], v[80:81], off
	global_load_dwordx4 v[72:75], v[36:37], off offset:656
	global_load_dwordx4 v[76:79], v[36:37], off offset:2656
	v_lshl_add_u64 v[88:89], v[80:81], 0, s[12:13]
	v_lshl_add_u64 v[92:93], v[88:89], 0, s[12:13]
	global_load_dwordx4 v[80:83], v[88:89], off
	global_load_dwordx4 v[84:87], v[38:39], off offset:560
	s_nop 0
	global_load_dwordx4 v[36:39], v[38:39], off offset:2560
	s_movk_i32 s2, 0x6000
	global_load_dwordx4 v[88:91], v[92:93], off
	v_lshl_add_u64 v[100:101], v[92:93], 0, s[12:13]
	global_load_dwordx4 v[92:95], v[100:101], off
	v_add_co_u32_e64 v96, s[2:3], s2, v144
	v_lshl_add_u64 v[100:101], v[100:101], 0, s[12:13]
	s_nop 0
	v_addc_co_u32_e64 v97, s[2:3], 0, v145, s[2:3]
	global_load_dwordx4 v[96:99], v[96:97], off offset:464
	s_waitcnt vmcnt(23)
	v_mul_f64 v[104:105], v[2:3], v[6:7]
	global_load_dwordx4 v[100:103], v[100:101], off
	v_mul_f64 v[6:7], v[0:1], v[6:7]
	v_fmac_f64_e32 v[104:105], v[0:1], v[4:5]
	v_fma_f64 v[106:107], v[2:3], v[4:5], -v[6:7]
	s_waitcnt vmcnt(22)
	v_mul_f64 v[0:1], v[10:11], v[14:15]
	v_mul_f64 v[2:3], v[8:9], v[14:15]
	v_fmac_f64_e32 v[0:1], v[8:9], v[12:13]
	v_fma_f64 v[2:3], v[10:11], v[12:13], -v[2:3]
	ds_write_b128 v182, v[0:3] offset:3040
	s_waitcnt vmcnt(18)
	v_mul_f64 v[0:1], v[30:31], v[26:27]
	v_mul_f64 v[2:3], v[28:29], v[26:27]
	v_fmac_f64_e32 v[0:1], v[28:29], v[24:25]
	v_fma_f64 v[2:3], v[30:31], v[24:25], -v[2:3]
	ds_write_b128 v182, v[0:3] offset:7040
	;; [unrolled: 6-line block ×3, first 2 shown]
	s_waitcnt vmcnt(10)
	v_mul_f64 v[0:1], v[34:35], v[66:67]
	v_mul_f64 v[2:3], v[32:33], v[66:67]
	v_fmac_f64_e32 v[0:1], v[32:33], v[64:65]
	v_fma_f64 v[2:3], v[34:35], v[64:65], -v[2:3]
	v_mul_f64 v[4:5], v[18:19], v[22:23]
	v_mul_f64 v[6:7], v[16:17], v[22:23]
	ds_write_b128 v182, v[0:3] offset:15040
	s_waitcnt vmcnt(6)
	v_mul_f64 v[0:1], v[82:83], v[78:79]
	v_mul_f64 v[2:3], v[80:81], v[78:79]
	v_fmac_f64_e32 v[4:5], v[16:17], v[20:21]
	v_fma_f64 v[6:7], v[18:19], v[20:21], -v[6:7]
	v_fmac_f64_e32 v[0:1], v[80:81], v[76:77]
	v_fma_f64 v[2:3], v[82:83], v[76:77], -v[2:3]
	ds_write_b128 v182, v[4:7] offset:5040
	v_mul_f64 v[4:5], v[42:43], v[46:47]
	v_mul_f64 v[6:7], v[40:41], v[46:47]
	ds_write_b128 v182, v[0:3] offset:19040
	s_waitcnt vmcnt(3)
	v_mul_f64 v[0:1], v[90:91], v[86:87]
	v_mul_f64 v[2:3], v[88:89], v[86:87]
	v_fmac_f64_e32 v[4:5], v[40:41], v[44:45]
	v_fma_f64 v[6:7], v[42:43], v[44:45], -v[6:7]
	v_fmac_f64_e32 v[0:1], v[88:89], v[84:85]
	v_fma_f64 v[2:3], v[90:91], v[84:85], -v[2:3]
	ds_write_b128 v182, v[4:7] offset:9040
	;; [unrolled: 11-line block ×3, first 2 shown]
	v_mul_f64 v[4:5], v[70:71], v[74:75]
	v_mul_f64 v[6:7], v[68:69], v[74:75]
	ds_write_b128 v182, v[0:3] offset:23040
	v_fmac_f64_e32 v[4:5], v[68:69], v[72:73]
	v_fma_f64 v[6:7], v[70:71], v[72:73], -v[6:7]
	ds_write_b128 v182, v[104:107] offset:1040
	ds_write_b128 v182, v[4:7] offset:17040
	s_waitcnt vmcnt(0)
	v_mul_f64 v[0:1], v[102:103], v[98:99]
	v_mul_f64 v[2:3], v[100:101], v[98:99]
	v_fmac_f64_e32 v[0:1], v[100:101], v[96:97]
	v_fma_f64 v[2:3], v[102:103], v[96:97], -v[2:3]
	ds_write_b128 v182, v[0:3] offset:25040
.LBB0_3:
	s_or_b64 exec, exec, s[14:15]
	s_waitcnt lgkmcnt(0)
	s_barrier
	ds_read_b128 v[92:95], v182
	ds_read_b128 v[100:103], v182 offset:2000
	ds_read_b128 v[88:91], v182 offset:4000
	;; [unrolled: 1-line block ×12, first 2 shown]
	s_load_dwordx2 s[2:3], s[0:1], 0x8
                                        ; implicit-def: $vgpr0_vgpr1
                                        ; implicit-def: $vgpr4_vgpr5
                                        ; implicit-def: $vgpr8_vgpr9
                                        ; implicit-def: $vgpr12_vgpr13
                                        ; implicit-def: $vgpr16_vgpr17
                                        ; implicit-def: $vgpr20_vgpr21
                                        ; implicit-def: $vgpr24_vgpr25
                                        ; implicit-def: $vgpr28_vgpr29
                                        ; implicit-def: $vgpr32_vgpr33
                                        ; implicit-def: $vgpr36_vgpr37
                                        ; implicit-def: $vgpr40_vgpr41
                                        ; implicit-def: $vgpr44_vgpr45
                                        ; implicit-def: $vgpr48_vgpr49
	s_and_saveexec_b64 s[0:1], vcc
	s_cbranch_execz .LBB0_5
; %bb.4:
	ds_read_b128 v[0:3], v182 offset:1040
	ds_read_b128 v[4:7], v182 offset:3040
	;; [unrolled: 1-line block ×13, first 2 shown]
.LBB0_5:
	s_or_b64 exec, exec, s[0:1]
	s_waitcnt lgkmcnt(0)
	v_add_f64 v[76:77], v[92:93], v[100:101]
	v_add_f64 v[78:79], v[94:95], v[102:103]
	;; [unrolled: 1-line block ×19, first 2 shown]
	s_mov_b32 s18, 0x4267c47c
	s_mov_b32 s12, 0x42a4c3d2
	;; [unrolled: 1-line block ×6, first 2 shown]
	v_add_f64 v[78:79], v[78:79], v[86:87]
	v_add_f64 v[76:77], v[76:77], v[96:97]
	;; [unrolled: 1-line block ×3, first 2 shown]
	v_add_f64 v[102:103], v[102:103], -v[106:107]
	s_mov_b32 s19, 0xbfddbe06
	s_mov_b32 s0, 0xe00740e9
	;; [unrolled: 1-line block ×12, first 2 shown]
	v_add_f64 v[78:79], v[78:79], v[98:99]
	v_add_f64 v[76:77], v[76:77], v[104:105]
	;; [unrolled: 1-line block ×3, first 2 shown]
	v_add_f64 v[100:101], v[100:101], -v[104:105]
	v_mul_f64 v[104:105], v[102:103], s[18:19]
	s_mov_b32 s1, 0x3fec55a7
	v_mul_f64 v[116:117], v[102:103], s[12:13]
	s_mov_b32 s9, 0x3fe22d96
	;; [unrolled: 2-line block ×6, first 2 shown]
	v_add_f64 v[78:79], v[78:79], v[106:107]
	v_fma_f64 v[106:107], v[108:109], s[0:1], -v[104:105]
	v_mul_f64 v[112:113], v[100:101], s[18:19]
	v_fmac_f64_e32 v[104:105], s[0:1], v[108:109]
	v_fma_f64 v[118:119], v[108:109], s[8:9], -v[116:117]
	v_mul_f64 v[120:121], v[100:101], s[12:13]
	v_fmac_f64_e32 v[116:117], s[8:9], v[108:109]
	;; [unrolled: 3-line block ×6, first 2 shown]
	v_add_f64 v[106:107], v[92:93], v[106:107]
	v_fma_f64 v[114:115], s[0:1], v[110:111], v[112:113]
	v_add_f64 v[104:105], v[92:93], v[104:105]
	v_fma_f64 v[112:113], v[110:111], s[0:1], -v[112:113]
	v_add_f64 v[118:119], v[92:93], v[118:119]
	v_fma_f64 v[122:123], s[8:9], v[110:111], v[120:121]
	v_add_f64 v[116:117], v[92:93], v[116:117]
	v_fma_f64 v[120:121], v[110:111], s[8:9], -v[120:121]
	;; [unrolled: 4-line block ×6, first 2 shown]
	v_add_f64 v[102:103], v[90:91], v[98:99]
	v_add_f64 v[90:91], v[90:91], -v[98:99]
	v_add_f64 v[114:115], v[94:95], v[114:115]
	v_add_f64 v[112:113], v[94:95], v[112:113]
	;; [unrolled: 1-line block ×13, first 2 shown]
	v_add_f64 v[88:89], v[88:89], -v[96:97]
	v_mul_f64 v[96:97], v[90:91], s[12:13]
	v_fma_f64 v[98:99], v[100:101], s[8:9], -v[96:97]
	v_add_f64 v[98:99], v[98:99], v[106:107]
	v_mul_f64 v[106:107], v[88:89], s[12:13]
	v_fmac_f64_e32 v[96:97], s[8:9], v[100:101]
	v_fma_f64 v[108:109], s[8:9], v[102:103], v[106:107]
	v_add_f64 v[96:97], v[96:97], v[104:105]
	v_fma_f64 v[104:105], v[102:103], s[8:9], -v[106:107]
	v_mul_f64 v[106:107], v[90:91], s[22:23]
	v_add_f64 v[104:105], v[104:105], v[112:113]
	v_fma_f64 v[110:111], v[100:101], s[20:21], -v[106:107]
	v_mul_f64 v[112:113], v[88:89], s[22:23]
	v_fmac_f64_e32 v[106:107], s[20:21], v[100:101]
	v_add_f64 v[108:109], v[108:109], v[114:115]
	v_fma_f64 v[114:115], s[20:21], v[102:103], v[112:113]
	v_add_f64 v[106:107], v[106:107], v[116:117]
	v_fma_f64 v[112:113], v[102:103], s[20:21], -v[112:113]
	v_mul_f64 v[116:117], v[90:91], s[30:31]
	v_add_f64 v[110:111], v[110:111], v[118:119]
	v_add_f64 v[112:113], v[112:113], v[120:121]
	v_fma_f64 v[118:119], v[100:101], s[28:29], -v[116:117]
	v_mul_f64 v[120:121], v[88:89], s[30:31]
	v_fmac_f64_e32 v[116:117], s[28:29], v[100:101]
	s_mov_b32 s37, 0x3fe5384d
	s_mov_b32 s36, s34
	v_add_f64 v[114:115], v[114:115], v[122:123]
	v_fma_f64 v[122:123], s[28:29], v[102:103], v[120:121]
	v_add_f64 v[116:117], v[116:117], v[124:125]
	v_fma_f64 v[120:121], v[102:103], s[28:29], -v[120:121]
	v_mul_f64 v[124:125], v[90:91], s[36:37]
	v_add_f64 v[118:119], v[118:119], v[126:127]
	v_add_f64 v[120:121], v[120:121], v[128:129]
	v_fma_f64 v[126:127], v[100:101], s[24:25], -v[124:125]
	v_mul_f64 v[128:129], v[88:89], s[36:37]
	v_fmac_f64_e32 v[124:125], s[24:25], v[100:101]
	s_mov_b32 s39, 0x3fefc445
	s_mov_b32 s38, s26
	v_add_f64 v[122:123], v[122:123], v[130:131]
	v_fma_f64 v[130:131], s[24:25], v[102:103], v[128:129]
	v_add_f64 v[124:125], v[124:125], v[132:133]
	v_fma_f64 v[128:129], v[102:103], s[24:25], -v[128:129]
	v_mul_f64 v[132:133], v[90:91], s[38:39]
	s_mov_b32 s41, 0x3fddbe06
	s_mov_b32 s40, s18
	v_add_f64 v[126:127], v[126:127], v[134:135]
	v_add_f64 v[128:129], v[128:129], v[136:137]
	v_fma_f64 v[134:135], v[100:101], s[14:15], -v[132:133]
	v_mul_f64 v[136:137], v[88:89], s[38:39]
	v_mul_f64 v[88:89], v[88:89], s[40:41]
	v_add_f64 v[134:135], v[134:135], v[142:143]
	v_fmac_f64_e32 v[132:133], s[14:15], v[100:101]
	v_mul_f64 v[90:91], v[90:91], s[40:41]
	v_fma_f64 v[142:143], s[0:1], v[102:103], v[88:89]
	v_fma_f64 v[88:89], v[102:103], s[0:1], -v[88:89]
	v_add_f64 v[132:133], v[132:133], v[140:141]
	v_fma_f64 v[140:141], v[100:101], s[0:1], -v[90:91]
	v_fmac_f64_e32 v[90:91], s[0:1], v[100:101]
	v_add_f64 v[88:89], v[88:89], v[94:95]
	v_add_f64 v[94:95], v[82:83], v[86:87]
	v_add_f64 v[82:83], v[82:83], -v[86:87]
	v_add_f64 v[90:91], v[90:91], v[92:93]
	v_add_f64 v[92:93], v[80:81], v[84:85]
	v_add_f64 v[80:81], v[80:81], -v[84:85]
	v_mul_f64 v[84:85], v[82:83], s[26:27]
	v_fma_f64 v[86:87], v[92:93], s[14:15], -v[84:85]
	v_add_f64 v[86:87], v[86:87], v[98:99]
	v_mul_f64 v[98:99], v[80:81], s[26:27]
	v_fmac_f64_e32 v[84:85], s[14:15], v[92:93]
	v_fma_f64 v[100:101], s[14:15], v[94:95], v[98:99]
	v_add_f64 v[84:85], v[84:85], v[96:97]
	v_fma_f64 v[96:97], v[94:95], s[14:15], -v[98:99]
	v_mul_f64 v[98:99], v[82:83], s[30:31]
	v_add_f64 v[130:131], v[130:131], v[138:139]
	v_fma_f64 v[138:139], s[14:15], v[102:103], v[136:137]
	v_fma_f64 v[136:137], v[102:103], s[14:15], -v[136:137]
	v_fma_f64 v[102:103], v[92:93], s[28:29], -v[98:99]
	v_fmac_f64_e32 v[98:99], s[28:29], v[92:93]
	s_mov_b32 s43, 0x3fedeba7
	s_mov_b32 s42, s22
	v_add_f64 v[96:97], v[96:97], v[104:105]
	v_mul_f64 v[104:105], v[80:81], s[30:31]
	v_add_f64 v[98:99], v[98:99], v[106:107]
	v_mul_f64 v[106:107], v[82:83], s[42:43]
	v_add_f64 v[100:101], v[100:101], v[108:109]
	v_add_f64 v[102:103], v[102:103], v[110:111]
	v_fma_f64 v[108:109], s[28:29], v[94:95], v[104:105]
	v_fma_f64 v[104:105], v[94:95], s[28:29], -v[104:105]
	v_fma_f64 v[110:111], v[92:93], s[20:21], -v[106:107]
	v_fmac_f64_e32 v[106:107], s[20:21], v[92:93]
	v_add_f64 v[104:105], v[104:105], v[112:113]
	v_mul_f64 v[112:113], v[80:81], s[42:43]
	v_add_f64 v[106:107], v[106:107], v[116:117]
	v_mul_f64 v[116:117], v[82:83], s[40:41]
	v_add_f64 v[108:109], v[108:109], v[114:115]
	v_add_f64 v[110:111], v[110:111], v[118:119]
	v_fma_f64 v[114:115], s[20:21], v[94:95], v[112:113]
	v_fma_f64 v[112:113], v[94:95], s[20:21], -v[112:113]
	v_fma_f64 v[118:119], v[92:93], s[0:1], -v[116:117]
	v_fmac_f64_e32 v[116:117], s[0:1], v[92:93]
	;; [unrolled: 10-line block ×3, first 2 shown]
	v_mul_f64 v[82:83], v[82:83], s[34:35]
	v_add_f64 v[120:121], v[120:121], v[128:129]
	v_mul_f64 v[128:129], v[80:81], s[12:13]
	v_add_f64 v[124:125], v[124:125], v[132:133]
	v_fma_f64 v[132:133], v[92:93], s[24:25], -v[82:83]
	v_mul_f64 v[80:81], v[80:81], s[34:35]
	v_fmac_f64_e32 v[82:83], s[24:25], v[92:93]
	v_add_f64 v[126:127], v[126:127], v[134:135]
	v_fma_f64 v[134:135], s[24:25], v[94:95], v[80:81]
	v_add_f64 v[82:83], v[82:83], v[90:91]
	v_fma_f64 v[80:81], v[94:95], s[24:25], -v[80:81]
	v_add_f64 v[90:91], v[70:71], v[74:75]
	v_add_f64 v[70:71], v[70:71], -v[74:75]
	v_add_f64 v[80:81], v[80:81], v[88:89]
	v_add_f64 v[88:89], v[68:69], v[72:73]
	v_add_f64 v[68:69], v[68:69], -v[72:73]
	v_mul_f64 v[72:73], v[70:71], s[22:23]
	v_fma_f64 v[74:75], v[88:89], s[20:21], -v[72:73]
	v_add_f64 v[74:75], v[74:75], v[86:87]
	v_mul_f64 v[86:87], v[68:69], s[22:23]
	v_fmac_f64_e32 v[72:73], s[20:21], v[88:89]
	v_fma_f64 v[92:93], s[20:21], v[90:91], v[86:87]
	v_add_f64 v[72:73], v[72:73], v[84:85]
	v_fma_f64 v[84:85], v[90:91], s[20:21], -v[86:87]
	v_mul_f64 v[86:87], v[70:71], s[36:37]
	v_add_f64 v[122:123], v[122:123], v[130:131]
	v_fma_f64 v[130:131], s[8:9], v[94:95], v[128:129]
	v_fma_f64 v[128:129], v[94:95], s[8:9], -v[128:129]
	v_fma_f64 v[94:95], v[88:89], s[24:25], -v[86:87]
	v_fmac_f64_e32 v[86:87], s[24:25], v[88:89]
	v_add_f64 v[84:85], v[84:85], v[96:97]
	v_mul_f64 v[96:97], v[68:69], s[36:37]
	v_add_f64 v[86:87], v[86:87], v[98:99]
	v_mul_f64 v[98:99], v[70:71], s[40:41]
	v_add_f64 v[92:93], v[92:93], v[100:101]
	v_add_f64 v[94:95], v[94:95], v[102:103]
	v_fma_f64 v[100:101], s[24:25], v[90:91], v[96:97]
	v_fma_f64 v[96:97], v[90:91], s[24:25], -v[96:97]
	v_fma_f64 v[102:103], v[88:89], s[0:1], -v[98:99]
	v_fmac_f64_e32 v[98:99], s[0:1], v[88:89]
	v_add_f64 v[96:97], v[96:97], v[104:105]
	v_mul_f64 v[104:105], v[68:69], s[40:41]
	v_add_f64 v[98:99], v[98:99], v[106:107]
	v_mul_f64 v[106:107], v[70:71], s[26:27]
	v_add_f64 v[100:101], v[100:101], v[108:109]
	v_add_f64 v[102:103], v[102:103], v[110:111]
	v_fma_f64 v[108:109], s[0:1], v[90:91], v[104:105]
	v_fma_f64 v[104:105], v[90:91], s[0:1], -v[104:105]
	v_fma_f64 v[110:111], v[88:89], s[14:15], -v[106:107]
	v_fmac_f64_e32 v[106:107], s[14:15], v[88:89]
	s_mov_b32 s45, 0x3fcea1e5
	s_mov_b32 s44, s30
	v_add_f64 v[104:105], v[104:105], v[112:113]
	v_mul_f64 v[112:113], v[68:69], s[26:27]
	v_add_f64 v[106:107], v[106:107], v[116:117]
	v_mul_f64 v[116:117], v[70:71], s[44:45]
	s_mov_b32 s47, 0x3fea55e2
	s_mov_b32 s46, s12
	v_add_f64 v[108:109], v[108:109], v[114:115]
	v_add_f64 v[110:111], v[110:111], v[118:119]
	v_fma_f64 v[114:115], s[14:15], v[90:91], v[112:113]
	v_fma_f64 v[112:113], v[90:91], s[14:15], -v[112:113]
	v_fma_f64 v[118:119], v[88:89], s[28:29], -v[116:117]
	v_fmac_f64_e32 v[116:117], s[28:29], v[88:89]
	v_mul_f64 v[70:71], v[70:71], s[46:47]
	v_add_f64 v[112:113], v[112:113], v[120:121]
	v_mul_f64 v[120:121], v[68:69], s[44:45]
	v_add_f64 v[116:117], v[116:117], v[124:125]
	v_fma_f64 v[124:125], v[88:89], s[8:9], -v[70:71]
	v_mul_f64 v[68:69], v[68:69], s[46:47]
	v_fmac_f64_e32 v[70:71], s[8:9], v[88:89]
	v_add_f64 v[118:119], v[118:119], v[126:127]
	v_fma_f64 v[126:127], s[8:9], v[90:91], v[68:69]
	v_add_f64 v[70:71], v[70:71], v[82:83]
	v_fma_f64 v[68:69], v[90:91], s[8:9], -v[68:69]
	v_add_f64 v[82:83], v[62:63], v[66:67]
	v_add_f64 v[62:63], v[62:63], -v[66:67]
	v_add_f64 v[68:69], v[68:69], v[80:81]
	v_add_f64 v[80:81], v[60:61], v[64:65]
	v_add_f64 v[60:61], v[60:61], -v[64:65]
	v_mul_f64 v[64:65], v[62:63], s[34:35]
	v_fma_f64 v[66:67], v[80:81], s[24:25], -v[64:65]
	v_add_f64 v[66:67], v[66:67], v[74:75]
	v_mul_f64 v[74:75], v[60:61], s[34:35]
	v_fmac_f64_e32 v[64:65], s[24:25], v[80:81]
	v_fma_f64 v[88:89], s[24:25], v[82:83], v[74:75]
	v_add_f64 v[64:65], v[64:65], v[72:73]
	v_fma_f64 v[72:73], v[82:83], s[24:25], -v[74:75]
	v_mul_f64 v[74:75], v[62:63], s[38:39]
	v_add_f64 v[114:115], v[114:115], v[122:123]
	v_fma_f64 v[122:123], s[28:29], v[90:91], v[120:121]
	v_fma_f64 v[120:121], v[90:91], s[28:29], -v[120:121]
	v_add_f64 v[72:73], v[72:73], v[84:85]
	v_fma_f64 v[84:85], v[80:81], s[14:15], -v[74:75]
	v_mul_f64 v[90:91], v[60:61], s[38:39]
	v_fmac_f64_e32 v[74:75], s[14:15], v[80:81]
	v_add_f64 v[88:89], v[88:89], v[92:93]
	v_fma_f64 v[92:93], s[14:15], v[82:83], v[90:91]
	v_add_f64 v[74:75], v[74:75], v[86:87]
	v_fma_f64 v[86:87], v[82:83], s[14:15], -v[90:91]
	v_mul_f64 v[90:91], v[62:63], s[12:13]
	v_add_f64 v[84:85], v[84:85], v[94:95]
	v_add_f64 v[86:87], v[86:87], v[96:97]
	v_fma_f64 v[94:95], v[80:81], s[8:9], -v[90:91]
	v_mul_f64 v[96:97], v[60:61], s[12:13]
	v_fmac_f64_e32 v[90:91], s[8:9], v[80:81]
	v_add_f64 v[92:93], v[92:93], v[100:101]
	v_fma_f64 v[100:101], s[8:9], v[82:83], v[96:97]
	v_add_f64 v[90:91], v[90:91], v[98:99]
	v_fma_f64 v[96:97], v[82:83], s[8:9], -v[96:97]
	v_mul_f64 v[98:99], v[62:63], s[44:45]
	v_add_f64 v[94:95], v[94:95], v[102:103]
	v_add_f64 v[96:97], v[96:97], v[104:105]
	v_fma_f64 v[102:103], v[80:81], s[28:29], -v[98:99]
	v_mul_f64 v[104:105], v[60:61], s[44:45]
	v_fmac_f64_e32 v[98:99], s[28:29], v[80:81]
	v_add_f64 v[142:143], v[142:143], v[152:153]
	v_add_f64 v[100:101], v[100:101], v[108:109]
	v_fma_f64 v[108:109], s[28:29], v[82:83], v[104:105]
	v_add_f64 v[98:99], v[98:99], v[106:107]
	v_fma_f64 v[104:105], v[82:83], s[28:29], -v[104:105]
	v_mul_f64 v[106:107], v[62:63], s[40:41]
	v_add_f64 v[136:137], v[136:137], v[146:147]
	v_add_f64 v[140:141], v[140:141], v[150:151]
	;; [unrolled: 1-line block ×5, first 2 shown]
	v_fma_f64 v[110:111], v[80:81], s[0:1], -v[106:107]
	v_mul_f64 v[112:113], v[60:61], s[40:41]
	v_mul_f64 v[60:61], v[60:61], s[22:23]
	v_add_f64 v[138:139], v[138:139], v[148:149]
	v_add_f64 v[128:129], v[128:129], v[136:137]
	;; [unrolled: 1-line block ×5, first 2 shown]
	v_fmac_f64_e32 v[106:107], s[0:1], v[80:81]
	v_mul_f64 v[62:63], v[62:63], s[22:23]
	v_fma_f64 v[118:119], s[20:21], v[82:83], v[60:61]
	v_add_f64 v[130:131], v[130:131], v[138:139]
	v_add_f64 v[120:121], v[120:121], v[128:129]
	v_add_f64 v[124:125], v[124:125], v[132:133]
	v_add_f64 v[108:109], v[108:109], v[114:115]
	v_fma_f64 v[114:115], s[0:1], v[82:83], v[112:113]
	v_add_f64 v[106:107], v[106:107], v[116:117]
	v_fma_f64 v[112:113], v[82:83], s[0:1], -v[112:113]
	v_fma_f64 v[116:117], v[80:81], s[20:21], -v[62:63]
	v_add_f64 v[118:119], v[118:119], v[126:127]
	v_add_f64 v[126:127], v[54:55], -v[58:59]
	v_add_f64 v[122:123], v[122:123], v[130:131]
	v_add_f64 v[112:113], v[112:113], v[120:121]
	;; [unrolled: 1-line block ×4, first 2 shown]
	v_add_f64 v[124:125], v[52:53], -v[56:57]
	v_mul_f64 v[56:57], v[126:127], s[30:31]
	v_add_f64 v[114:115], v[114:115], v[122:123]
	v_add_f64 v[122:123], v[54:55], v[58:59]
	v_fma_f64 v[52:53], v[120:121], s[28:29], -v[56:57]
	v_mul_f64 v[58:59], v[124:125], s[30:31]
	v_fmac_f64_e32 v[56:57], s[28:29], v[120:121]
	v_fma_f64 v[60:61], v[82:83], s[20:21], -v[60:61]
	v_fma_f64 v[54:55], s[28:29], v[122:123], v[58:59]
	v_add_f64 v[56:57], v[56:57], v[64:65]
	v_fma_f64 v[58:59], v[122:123], s[28:29], -v[58:59]
	v_mul_f64 v[64:65], v[126:127], s[40:41]
	v_add_f64 v[82:83], v[60:61], v[68:69]
	v_add_f64 v[58:59], v[58:59], v[72:73]
	v_fma_f64 v[60:61], v[120:121], s[0:1], -v[64:65]
	v_fmac_f64_e32 v[64:65], s[0:1], v[120:121]
	v_mul_f64 v[72:73], v[126:127], s[34:35]
	v_add_f64 v[64:65], v[64:65], v[74:75]
	v_fma_f64 v[68:69], v[120:121], s[24:25], -v[72:73]
	v_mul_f64 v[74:75], v[124:125], s[34:35]
	v_fmac_f64_e32 v[72:73], s[24:25], v[120:121]
	v_add_f64 v[150:151], v[72:73], v[90:91]
	v_fma_f64 v[72:73], v[122:123], s[24:25], -v[74:75]
	v_fmac_f64_e32 v[62:63], s[20:21], v[80:81]
	v_add_f64 v[152:153], v[72:73], v[96:97]
	v_mul_f64 v[72:73], v[126:127], s[46:47]
	v_add_f64 v[80:81], v[62:63], v[70:71]
	v_fma_f64 v[70:71], s[24:25], v[122:123], v[74:75]
	v_fma_f64 v[74:75], v[120:121], s[8:9], -v[72:73]
	v_add_f64 v[156:157], v[74:75], v[102:103]
	v_mul_f64 v[74:75], v[124:125], s[46:47]
	v_fmac_f64_e32 v[72:73], s[8:9], v[120:121]
	v_add_f64 v[160:161], v[72:73], v[98:99]
	v_fma_f64 v[72:73], v[122:123], s[8:9], -v[74:75]
	v_add_f64 v[162:163], v[72:73], v[104:105]
	v_mul_f64 v[72:73], v[126:127], s[22:23]
	v_add_f64 v[60:61], v[60:61], v[84:85]
	v_fma_f64 v[84:85], s[8:9], v[122:123], v[74:75]
	v_fma_f64 v[74:75], v[120:121], s[20:21], -v[72:73]
	v_add_f64 v[164:165], v[74:75], v[110:111]
	v_mul_f64 v[74:75], v[124:125], s[22:23]
	v_fmac_f64_e32 v[72:73], s[20:21], v[120:121]
	v_add_f64 v[168:169], v[72:73], v[106:107]
	v_fma_f64 v[72:73], v[122:123], s[20:21], -v[74:75]
	v_add_f64 v[170:171], v[72:73], v[112:113]
	v_mul_f64 v[72:73], v[126:127], s[38:39]
	v_add_f64 v[158:159], v[84:85], v[108:109]
	v_fma_f64 v[84:85], s[20:21], v[122:123], v[74:75]
	v_fma_f64 v[74:75], v[120:121], s[14:15], -v[72:73]
	v_add_f64 v[172:173], v[74:75], v[116:117]
	v_mul_f64 v[74:75], v[124:125], s[38:39]
	v_fmac_f64_e32 v[72:73], s[14:15], v[120:121]
	v_add_f64 v[166:167], v[84:85], v[114:115]
	v_fma_f64 v[84:85], s[14:15], v[122:123], v[74:75]
	v_add_f64 v[176:177], v[72:73], v[80:81]
	v_fma_f64 v[72:73], v[122:123], s[14:15], -v[74:75]
	v_add_f64 v[110:111], v[6:7], -v[50:51]
	v_add_f64 v[68:69], v[68:69], v[94:95]
	v_add_f64 v[174:175], v[84:85], v[118:119]
	;; [unrolled: 1-line block ×4, first 2 shown]
	v_add_f64 v[94:95], v[4:5], -v[48:49]
	v_mul_f64 v[72:73], v[110:111], s[18:19]
	v_add_f64 v[52:53], v[52:53], v[66:67]
	v_mul_f64 v[66:67], v[124:125], s[40:41]
	v_add_f64 v[124:125], v[6:7], v[50:51]
	v_mul_f64 v[80:81], v[94:95], s[18:19]
	v_fma_f64 v[74:75], s[0:1], v[84:85], v[72:73]
	v_add_f64 v[82:83], v[0:1], v[74:75]
	v_fma_f64 v[74:75], v[124:125], s[0:1], -v[80:81]
	v_add_f64 v[118:119], v[10:11], -v[46:47]
	v_add_f64 v[54:55], v[54:55], v[88:89]
	v_fma_f64 v[62:63], s[0:1], v[122:123], v[66:67]
	v_fma_f64 v[66:67], v[122:123], s[0:1], -v[66:67]
	v_add_f64 v[88:89], v[2:3], v[74:75]
	v_add_f64 v[90:91], v[8:9], v[44:45]
	v_add_f64 v[104:105], v[8:9], -v[44:45]
	v_mul_f64 v[74:75], v[118:119], s[12:13]
	v_add_f64 v[62:63], v[62:63], v[92:93]
	v_add_f64 v[66:67], v[66:67], v[86:87]
	v_add_f64 v[130:131], v[10:11], v[46:47]
	v_mul_f64 v[86:87], v[104:105], s[12:13]
	v_fma_f64 v[92:93], s[8:9], v[90:91], v[74:75]
	v_add_f64 v[96:97], v[92:93], v[82:83]
	v_fma_f64 v[82:83], v[130:131], s[8:9], -v[86:87]
	v_add_f64 v[128:129], v[14:15], -v[42:43]
	v_add_f64 v[88:89], v[82:83], v[88:89]
	v_add_f64 v[98:99], v[12:13], v[40:41]
	v_add_f64 v[112:113], v[12:13], -v[40:41]
	v_mul_f64 v[82:83], v[128:129], s[26:27]
	v_add_f64 v[70:71], v[70:71], v[100:101]
	v_add_f64 v[136:137], v[14:15], v[42:43]
	v_mul_f64 v[92:93], v[112:113], s[26:27]
	v_fma_f64 v[100:101], s[14:15], v[98:99], v[82:83]
	v_add_f64 v[96:97], v[100:101], v[96:97]
	v_fma_f64 v[100:101], v[136:137], s[14:15], -v[92:93]
	v_add_f64 v[134:135], v[18:19], -v[38:39]
	v_add_f64 v[100:101], v[100:101], v[88:89]
	v_add_f64 v[106:107], v[16:17], v[36:37]
	v_add_f64 v[120:121], v[16:17], -v[36:37]
	v_mul_f64 v[88:89], v[134:135], s[22:23]
	v_add_f64 v[142:143], v[18:19], v[38:39]
	v_mul_f64 v[102:103], v[120:121], s[22:23]
	v_fma_f64 v[108:109], s[20:21], v[106:107], v[88:89]
	v_add_f64 v[108:109], v[108:109], v[96:97]
	v_fma_f64 v[96:97], v[142:143], s[20:21], -v[102:103]
	v_add_f64 v[138:139], v[22:23], -v[34:35]
	v_add_f64 v[100:101], v[96:97], v[100:101]
	v_add_f64 v[116:117], v[20:21], v[32:33]
	v_mul_f64 v[96:97], v[138:139], s[34:35]
	v_fma_f64 v[114:115], s[24:25], v[116:117], v[96:97]
	v_add_f64 v[132:133], v[20:21], -v[32:33]
	v_add_f64 v[122:123], v[114:115], v[108:109]
	v_add_f64 v[148:149], v[22:23], v[34:35]
	v_mul_f64 v[114:115], v[132:133], s[34:35]
	v_fma_f64 v[108:109], v[148:149], s[24:25], -v[114:115]
	v_add_f64 v[146:147], v[26:27], -v[30:31]
	v_add_f64 v[100:101], v[108:109], v[100:101]
	v_add_f64 v[126:127], v[24:25], v[28:29]
	v_mul_f64 v[108:109], v[146:147], s[30:31]
	v_fma_f64 v[140:141], s[28:29], v[126:127], v[108:109]
	v_add_f64 v[184:185], v[140:141], v[122:123]
	v_add_f64 v[140:141], v[24:25], -v[28:29]
	v_add_f64 v[154:155], v[26:27], v[30:31]
	v_mul_f64 v[122:123], v[140:141], s[30:31]
	v_fma_f64 v[180:181], v[154:155], s[28:29], -v[122:123]
	v_add_f64 v[186:187], v[180:181], v[100:101]
	v_mul_lo_u16_e32 v100, 13, v194
	s_mov_b64 s[48:49], 0x41
	v_lshl_add_u32 v183, v100, 4, v196
	v_lshl_add_u64 v[100:101], v[194:195], 0, s[48:49]
	v_accvgpr_write_b32 a56, v184
	s_barrier
	ds_write_b128 v183, v[76:79]
	ds_write_b128 v183, v[52:55] offset:16
	ds_write_b128 v183, v[60:63] offset:32
	;; [unrolled: 1-line block ×4, first 2 shown]
	v_mul_u32_u24_e32 v52, 13, v100
	v_accvgpr_write_b32 a57, v185
	v_accvgpr_write_b32 a58, v186
	;; [unrolled: 1-line block ×4, first 2 shown]
	ds_write_b128 v183, v[164:167] offset:80
	ds_write_b128 v183, v[172:175] offset:96
	;; [unrolled: 1-line block ×8, first 2 shown]
	s_and_saveexec_b64 s[48:49], vcc
	s_cbranch_execz .LBB0_7
; %bb.6:
	v_mul_f64 v[172:173], v[124:125], s[28:29]
	v_mul_f64 v[68:69], v[130:131], s[0:1]
	v_fma_f64 v[174:175], s[44:45], v[94:95], v[172:173]
	v_mul_f64 v[188:189], v[110:111], s[30:31]
	v_mul_f64 v[64:65], v[136:137], s[24:25]
	v_fma_f64 v[70:71], s[18:19], v[104:105], v[68:69]
	v_add_f64 v[174:175], v[2:3], v[174:175]
	v_mul_f64 v[184:185], v[118:119], s[40:41]
	v_fma_f64 v[190:191], s[28:29], v[84:85], v[188:189]
	v_mul_f64 v[60:61], v[142:143], s[8:9]
	v_fma_f64 v[66:67], s[36:37], v[112:113], v[64:65]
	v_add_f64 v[70:71], v[70:71], v[174:175]
	v_mul_f64 v[178:179], v[128:129], s[34:35]
	v_fma_f64 v[186:187], s[0:1], v[90:91], v[184:185]
	v_add_f64 v[190:191], v[0:1], v[190:191]
	v_mul_f64 v[58:59], v[148:149], s[20:21]
	v_fma_f64 v[62:63], s[12:13], v[120:121], v[60:61]
	v_add_f64 v[66:67], v[66:67], v[70:71]
	v_mul_f64 v[174:175], v[134:135], s[46:47]
	v_fma_f64 v[180:181], s[24:25], v[98:99], v[178:179]
	v_add_f64 v[186:187], v[186:187], v[190:191]
	v_mul_f64 v[56:57], v[154:155], s[14:15]
	v_fma_f64 v[54:55], s[42:43], v[132:133], v[58:59]
	v_add_f64 v[62:63], v[62:63], v[66:67]
	v_mul_f64 v[66:67], v[138:139], s[22:23]
	v_fma_f64 v[176:177], s[8:9], v[106:107], v[174:175]
	v_add_f64 v[180:181], v[180:181], v[186:187]
	v_fma_f64 v[52:53], s[26:27], v[140:141], v[56:57]
	v_add_f64 v[54:55], v[54:55], v[62:63]
	v_mul_f64 v[62:63], v[146:147], s[38:39]
	v_fma_f64 v[70:71], s[20:21], v[116:117], v[66:67]
	v_add_f64 v[176:177], v[176:177], v[180:181]
	v_add_f64 v[54:55], v[52:53], v[54:55]
	v_fma_f64 v[52:53], s[14:15], v[126:127], v[62:63]
	v_add_f64 v[70:71], v[70:71], v[176:177]
	v_fmac_f64_e32 v[172:173], s[30:31], v[94:95]
	v_add_f64 v[52:53], v[52:53], v[70:71]
	v_fmac_f64_e32 v[68:69], s[40:41], v[104:105]
	;; [unrolled: 2-line block ×5, first 2 shown]
	v_add_f64 v[60:61], v[60:61], v[64:65]
	v_fma_f64 v[68:69], v[84:85], s[28:29], -v[188:189]
	v_mul_f64 v[180:181], v[124:125], s[24:25]
	v_add_f64 v[58:59], v[58:59], v[60:61]
	v_fma_f64 v[60:61], v[116:117], s[20:21], -v[66:67]
	v_fma_f64 v[66:67], v[90:91], s[0:1], -v[184:185]
	v_add_f64 v[68:69], v[0:1], v[68:69]
	v_mul_f64 v[176:177], v[130:131], s[14:15]
	v_fma_f64 v[184:185], s[36:37], v[94:95], v[180:181]
	v_mov_b32_e32 v101, v196
	v_mul_f64 v[196:197], v[110:111], s[34:35]
	v_fmac_f64_e32 v[56:57], s[38:39], v[140:141]
	v_fma_f64 v[64:65], v[98:99], s[24:25], -v[178:179]
	v_add_f64 v[66:67], v[66:67], v[68:69]
	v_mul_f64 v[172:173], v[136:137], s[8:9]
	v_fma_f64 v[178:179], s[26:27], v[104:105], v[176:177]
	v_add_f64 v[184:185], v[2:3], v[184:185]
	v_mul_f64 v[192:193], v[118:119], s[38:39]
	v_fma_f64 v[198:199], s[24:25], v[84:85], v[196:197]
	v_add_f64 v[58:59], v[56:57], v[58:59]
	v_fma_f64 v[56:57], v[126:127], s[14:15], -v[62:63]
	v_fma_f64 v[62:63], v[106:107], s[8:9], -v[174:175]
	v_add_f64 v[64:65], v[64:65], v[66:67]
	v_mul_f64 v[68:69], v[142:143], s[28:29]
	v_fma_f64 v[174:175], s[46:47], v[112:113], v[172:173]
	v_add_f64 v[178:179], v[178:179], v[184:185]
	v_mul_f64 v[188:189], v[128:129], s[12:13]
	v_mov_b64_e32 v[216:217], v[194:195]
	v_fma_f64 v[194:195], s[14:15], v[90:91], v[192:193]
	v_add_f64 v[198:199], v[0:1], v[198:199]
	v_add_f64 v[62:63], v[62:63], v[64:65]
	v_mul_f64 v[66:67], v[148:149], s[0:1]
	v_fma_f64 v[70:71], s[30:31], v[120:121], v[68:69]
	v_add_f64 v[174:175], v[174:175], v[178:179]
	v_mul_f64 v[184:185], v[134:135], s[44:45]
	v_fma_f64 v[190:191], s[8:9], v[98:99], v[188:189]
	v_add_f64 v[194:195], v[194:195], v[198:199]
	v_add_f64 v[60:61], v[60:61], v[62:63]
	v_mul_f64 v[64:65], v[154:155], s[20:21]
	v_fma_f64 v[62:63], s[18:19], v[132:133], v[66:67]
	v_add_f64 v[70:71], v[70:71], v[174:175]
	v_mul_f64 v[174:175], v[138:139], s[40:41]
	v_fma_f64 v[186:187], s[28:29], v[106:107], v[184:185]
	v_add_f64 v[190:191], v[190:191], v[194:195]
	v_add_f64 v[56:57], v[56:57], v[60:61]
	v_fma_f64 v[60:61], s[42:43], v[140:141], v[64:65]
	v_add_f64 v[62:63], v[62:63], v[70:71]
	v_mul_f64 v[70:71], v[146:147], s[22:23]
	v_fma_f64 v[178:179], s[0:1], v[116:117], v[174:175]
	v_add_f64 v[186:187], v[186:187], v[190:191]
	v_add_f64 v[62:63], v[60:61], v[62:63]
	v_fma_f64 v[60:61], s[20:21], v[126:127], v[70:71]
	v_add_f64 v[178:179], v[178:179], v[186:187]
	v_fmac_f64_e32 v[180:181], s[34:35], v[94:95]
	v_add_f64 v[60:61], v[60:61], v[178:179]
	v_fmac_f64_e32 v[176:177], s[38:39], v[104:105]
	;; [unrolled: 2-line block ×5, first 2 shown]
	v_add_f64 v[68:69], v[68:69], v[172:173]
	v_fma_f64 v[176:177], v[84:85], s[24:25], -v[196:197]
	v_mul_f64 v[190:191], v[124:125], s[20:21]
	v_add_f64 v[66:67], v[66:67], v[68:69]
	v_fma_f64 v[68:69], v[116:117], s[0:1], -v[174:175]
	v_fma_f64 v[174:175], v[90:91], s[14:15], -v[192:193]
	v_add_f64 v[176:177], v[0:1], v[176:177]
	v_mul_f64 v[186:187], v[130:131], s[24:25]
	v_fma_f64 v[192:193], s[42:43], v[94:95], v[190:191]
	v_mul_f64 v[204:205], v[110:111], s[22:23]
	v_fmac_f64_e32 v[64:65], s[22:23], v[140:141]
	v_fma_f64 v[172:173], v[98:99], s[8:9], -v[188:189]
	v_add_f64 v[174:175], v[174:175], v[176:177]
	v_mul_f64 v[180:181], v[136:137], s[0:1]
	v_fma_f64 v[188:189], s[34:35], v[104:105], v[186:187]
	v_add_f64 v[192:193], v[2:3], v[192:193]
	v_mul_f64 v[200:201], v[118:119], s[36:37]
	v_fma_f64 v[206:207], s[20:21], v[84:85], v[204:205]
	v_add_f64 v[66:67], v[64:65], v[66:67]
	v_fma_f64 v[64:65], v[126:127], s[20:21], -v[70:71]
	v_fma_f64 v[70:71], v[106:107], s[28:29], -v[184:185]
	v_add_f64 v[172:173], v[172:173], v[174:175]
	v_mul_f64 v[176:177], v[142:143], s[14:15]
	v_fma_f64 v[184:185], s[18:19], v[112:113], v[180:181]
	v_add_f64 v[188:189], v[188:189], v[192:193]
	v_mul_f64 v[196:197], v[128:129], s[40:41]
	v_fma_f64 v[202:203], s[24:25], v[90:91], v[200:201]
	v_add_f64 v[206:207], v[0:1], v[206:207]
	v_add_f64 v[70:71], v[70:71], v[172:173]
	v_mul_f64 v[174:175], v[148:149], s[28:29]
	v_fma_f64 v[178:179], s[38:39], v[120:121], v[176:177]
	v_add_f64 v[184:185], v[184:185], v[188:189]
	v_mul_f64 v[192:193], v[134:135], s[26:27]
	v_fma_f64 v[198:199], s[0:1], v[98:99], v[196:197]
	v_add_f64 v[202:203], v[202:203], v[206:207]
	;; [unrolled: 7-line block ×3, first 2 shown]
	v_add_f64 v[64:65], v[64:65], v[68:69]
	v_fma_f64 v[68:69], s[12:13], v[140:141], v[172:173]
	v_add_f64 v[70:71], v[70:71], v[178:179]
	v_mul_f64 v[178:179], v[146:147], s[46:47]
	v_fma_f64 v[188:189], s[28:29], v[116:117], v[184:185]
	v_add_f64 v[194:195], v[194:195], v[198:199]
	v_add_f64 v[70:71], v[68:69], v[70:71]
	v_fma_f64 v[68:69], s[8:9], v[126:127], v[178:179]
	v_add_f64 v[188:189], v[188:189], v[194:195]
	v_fmac_f64_e32 v[190:191], s[22:23], v[94:95]
	v_add_f64 v[68:69], v[68:69], v[188:189]
	v_fmac_f64_e32 v[186:187], s[36:37], v[104:105]
	;; [unrolled: 2-line block ×5, first 2 shown]
	v_add_f64 v[176:177], v[176:177], v[180:181]
	v_fma_f64 v[186:187], v[84:85], s[20:21], -v[204:205]
	v_mul_f64 v[198:199], v[124:125], s[14:15]
	v_add_f64 v[174:175], v[174:175], v[176:177]
	v_fma_f64 v[176:177], v[116:117], s[28:29], -v[184:185]
	v_fma_f64 v[184:185], v[90:91], s[24:25], -v[200:201]
	v_add_f64 v[186:187], v[0:1], v[186:187]
	v_mul_f64 v[194:195], v[130:131], s[28:29]
	v_fma_f64 v[200:201], s[38:39], v[94:95], v[198:199]
	v_mul_f64 v[212:213], v[110:111], s[26:27]
	v_fmac_f64_e32 v[172:173], s[46:47], v[140:141]
	v_fma_f64 v[180:181], v[98:99], s[0:1], -v[196:197]
	v_add_f64 v[184:185], v[184:185], v[186:187]
	v_mul_f64 v[190:191], v[136:137], s[20:21]
	v_fma_f64 v[196:197], s[44:45], v[104:105], v[194:195]
	v_add_f64 v[200:201], v[2:3], v[200:201]
	v_mul_f64 v[208:209], v[118:119], s[30:31]
	v_fma_f64 v[214:215], s[14:15], v[84:85], v[212:213]
	v_add_f64 v[174:175], v[172:173], v[174:175]
	v_fma_f64 v[172:173], v[126:127], s[8:9], -v[178:179]
	v_fma_f64 v[178:179], v[106:107], s[14:15], -v[192:193]
	v_add_f64 v[180:181], v[180:181], v[184:185]
	v_mul_f64 v[186:187], v[142:143], s[0:1]
	v_fma_f64 v[192:193], s[22:23], v[112:113], v[190:191]
	v_add_f64 v[196:197], v[196:197], v[200:201]
	v_mul_f64 v[204:205], v[128:129], s[42:43]
	v_fma_f64 v[210:211], s[28:29], v[90:91], v[208:209]
	v_add_f64 v[214:215], v[0:1], v[214:215]
	v_add_f64 v[178:179], v[178:179], v[180:181]
	v_mul_f64 v[184:185], v[148:149], s[8:9]
	v_fma_f64 v[188:189], s[18:19], v[120:121], v[186:187]
	v_add_f64 v[192:193], v[192:193], v[196:197]
	v_mul_f64 v[200:201], v[134:135], s[40:41]
	v_fma_f64 v[206:207], s[20:21], v[98:99], v[204:205]
	v_add_f64 v[210:211], v[210:211], v[214:215]
	;; [unrolled: 7-line block ×3, first 2 shown]
	v_add_f64 v[172:173], v[172:173], v[176:177]
	v_fma_f64 v[176:177], s[36:37], v[140:141], v[180:181]
	v_add_f64 v[178:179], v[178:179], v[188:189]
	v_mul_f64 v[188:189], v[146:147], s[34:35]
	v_fma_f64 v[196:197], s[8:9], v[116:117], v[192:193]
	v_add_f64 v[202:203], v[202:203], v[206:207]
	v_add_f64 v[178:179], v[176:177], v[178:179]
	v_fma_f64 v[176:177], s[24:25], v[126:127], v[188:189]
	v_add_f64 v[196:197], v[196:197], v[202:203]
	v_fmac_f64_e32 v[198:199], s[26:27], v[94:95]
	v_add_f64 v[176:177], v[176:177], v[196:197]
	v_fmac_f64_e32 v[194:195], s[30:31], v[104:105]
	;; [unrolled: 2-line block ×5, first 2 shown]
	v_add_f64 v[186:187], v[186:187], v[190:191]
	v_mul_f64 v[76:77], v[84:85], s[0:1]
	v_mul_f64 v[158:159], v[124:125], s[0:1]
	v_fmac_f64_e32 v[180:181], s[34:35], v[140:141]
	v_add_f64 v[184:185], v[184:185], v[186:187]
	v_fma_f64 v[194:195], v[84:85], s[14:15], -v[212:213]
	v_mul_f64 v[124:125], v[124:125], s[8:9]
	v_mul_f64 v[110:111], v[110:111], s[12:13]
	v_add_f64 v[186:187], v[180:181], v[184:185]
	v_fma_f64 v[184:185], v[116:117], s[8:9], -v[192:193]
	v_fma_f64 v[192:193], v[90:91], s[28:29], -v[208:209]
	v_add_f64 v[194:195], v[0:1], v[194:195]
	v_fma_f64 v[196:197], s[46:47], v[94:95], v[124:125]
	v_fma_f64 v[198:199], s[8:9], v[84:85], v[110:111]
	v_fmac_f64_e32 v[124:125], s[12:13], v[94:95]
	v_fma_f64 v[84:85], v[84:85], s[8:9], -v[110:111]
	v_add_f64 v[80:81], v[80:81], v[158:159]
	v_add_f64 v[72:73], v[76:77], -v[72:73]
	v_add_f64 v[192:193], v[192:193], v[194:195]
	v_mul_f64 v[194:195], v[130:131], s[20:21]
	v_add_f64 v[196:197], v[2:3], v[196:197]
	v_add_f64 v[198:199], v[0:1], v[198:199]
	v_add_f64 v[94:95], v[2:3], v[124:125]
	v_add_f64 v[84:85], v[0:1], v[84:85]
	v_add_f64 v[80:81], v[2:3], v[80:81]
	v_add_f64 v[72:73], v[0:1], v[72:73]
	v_add_f64 v[2:3], v[2:3], v[6:7]
	v_add_f64 v[0:1], v[0:1], v[4:5]
	v_mul_f64 v[162:163], v[130:131], s[8:9]
	v_mul_f64 v[164:165], v[136:137], s[14:15]
	v_fma_f64 v[190:191], v[98:99], s[20:21], -v[204:205]
	v_mul_f64 v[136:137], v[136:137], s[28:29]
	v_fma_f64 v[130:131], s[42:43], v[104:105], v[194:195]
	v_add_f64 v[2:3], v[2:3], v[10:11]
	v_add_f64 v[0:1], v[0:1], v[8:9]
	;; [unrolled: 1-line block ×3, first 2 shown]
	v_fma_f64 v[192:193], s[44:45], v[112:113], v[136:137]
	v_add_f64 v[130:131], v[130:131], v[196:197]
	v_mul_f64 v[118:119], v[118:119], s[22:23]
	v_fmac_f64_e32 v[194:195], s[22:23], v[104:105]
	v_add_f64 v[2:3], v[2:3], v[14:15]
	v_add_f64 v[0:1], v[0:1], v[12:13]
	v_mul_f64 v[78:79], v[90:91], s[8:9]
	v_mul_f64 v[166:167], v[142:143], s[20:21]
	v_fma_f64 v[180:181], v[126:127], s[24:25], -v[188:189]
	v_fma_f64 v[188:189], v[106:107], s[0:1], -v[200:201]
	v_mul_f64 v[142:143], v[142:143], s[24:25]
	v_add_f64 v[130:131], v[192:193], v[130:131]
	v_mul_f64 v[192:193], v[128:129], s[30:31]
	v_fma_f64 v[196:197], s[20:21], v[90:91], v[118:119]
	v_fmac_f64_e32 v[136:137], s[30:31], v[112:113]
	v_add_f64 v[94:95], v[194:195], v[94:95]
	v_fma_f64 v[90:91], v[90:91], s[20:21], -v[118:119]
	v_add_f64 v[2:3], v[2:3], v[18:19]
	v_add_f64 v[0:1], v[0:1], v[16:17]
	v_mul_f64 v[150:151], v[98:99], s[14:15]
	v_mul_f64 v[168:169], v[148:149], s[24:25]
	v_add_f64 v[188:189], v[188:189], v[190:191]
	v_mul_f64 v[148:149], v[148:149], s[14:15]
	v_fma_f64 v[190:191], s[34:35], v[120:121], v[142:143]
	v_mul_f64 v[134:135], v[134:135], s[36:37]
	v_fma_f64 v[128:129], s[28:29], v[98:99], v[192:193]
	v_fmac_f64_e32 v[142:143], s[36:37], v[120:121]
	v_add_f64 v[94:95], v[136:137], v[94:95]
	v_fma_f64 v[98:99], v[98:99], s[28:29], -v[192:193]
	v_add_f64 v[84:85], v[90:91], v[84:85]
	v_add_f64 v[2:3], v[2:3], v[22:23]
	;; [unrolled: 1-line block ×3, first 2 shown]
	v_mul_f64 v[152:153], v[106:107], s[20:21]
	v_mul_f64 v[170:171], v[154:155], s[28:29]
	v_add_f64 v[184:185], v[184:185], v[188:189]
	v_mul_f64 v[154:155], v[154:155], s[0:1]
	v_fma_f64 v[188:189], s[26:27], v[132:133], v[148:149]
	v_add_f64 v[130:131], v[190:191], v[130:131]
	v_mul_f64 v[138:139], v[138:139], s[38:39]
	v_fma_f64 v[190:191], s[24:25], v[106:107], v[134:135]
	v_fmac_f64_e32 v[148:149], s[38:39], v[132:133]
	v_add_f64 v[94:95], v[142:143], v[94:95]
	v_fma_f64 v[106:107], v[106:107], s[24:25], -v[134:135]
	v_add_f64 v[84:85], v[98:99], v[84:85]
	v_add_f64 v[2:3], v[2:3], v[26:27]
	;; [unrolled: 1-line block ×4, first 2 shown]
	v_fma_f64 v[180:181], s[18:19], v[140:141], v[154:155]
	v_mul_f64 v[146:147], v[146:147], s[40:41]
	v_fmac_f64_e32 v[154:155], s[40:41], v[140:141]
	v_add_f64 v[94:95], v[148:149], v[94:95]
	v_fma_f64 v[104:105], v[116:117], s[14:15], -v[138:139]
	v_add_f64 v[84:85], v[106:107], v[84:85]
	v_add_f64 v[86:87], v[86:87], v[162:163]
	;; [unrolled: 1-line block ×5, first 2 shown]
	v_fma_f64 v[94:95], v[126:127], s[0:1], -v[146:147]
	v_add_f64 v[84:85], v[104:105], v[84:85]
	v_add_f64 v[92:93], v[92:93], v[164:165]
	;; [unrolled: 1-line block ×3, first 2 shown]
	v_add_f64 v[74:75], v[78:79], -v[74:75]
	v_add_f64 v[2:3], v[2:3], v[34:35]
	v_add_f64 v[0:1], v[0:1], v[32:33]
	;; [unrolled: 1-line block ×6, first 2 shown]
	v_add_f64 v[82:83], v[150:151], -v[82:83]
	v_add_f64 v[72:73], v[74:75], v[72:73]
	v_add_f64 v[2:3], v[2:3], v[38:39]
	v_add_f64 v[0:1], v[0:1], v[36:37]
	v_mul_f64 v[156:157], v[116:117], s[24:25]
	v_add_f64 v[128:129], v[128:129], v[196:197]
	v_add_f64 v[90:91], v[114:115], v[168:169]
	;; [unrolled: 1-line block ×3, first 2 shown]
	v_add_f64 v[88:89], v[152:153], -v[88:89]
	v_add_f64 v[72:73], v[82:83], v[72:73]
	v_add_f64 v[2:3], v[2:3], v[42:43]
	;; [unrolled: 1-line block ×3, first 2 shown]
	v_mul_f64 v[160:161], v[126:127], s[28:29]
	v_add_f64 v[130:131], v[188:189], v[130:131]
	v_fma_f64 v[188:189], s[14:15], v[116:117], v[138:139]
	v_mov_b32_e32 v196, v101
	v_add_f64 v[128:129], v[190:191], v[128:129]
	v_add_f64 v[84:85], v[122:123], v[170:171]
	;; [unrolled: 1-line block ×3, first 2 shown]
	v_add_f64 v[86:87], v[156:157], -v[96:97]
	v_add_f64 v[72:73], v[88:89], v[72:73]
	v_add_f64 v[2:3], v[2:3], v[46:47]
	;; [unrolled: 1-line block ×3, first 2 shown]
	v_accvgpr_read_b32 v4, a1
	v_add_f64 v[130:131], v[180:181], v[130:131]
	v_fma_f64 v[180:181], s[0:1], v[126:127], v[146:147]
	v_add_f64 v[128:129], v[188:189], v[128:129]
	v_mov_b64_e32 v[194:195], v[216:217]
	v_add_f64 v[80:81], v[84:85], v[80:81]
	v_add_f64 v[84:85], v[160:161], -v[108:109]
	v_add_f64 v[72:73], v[86:87], v[72:73]
	v_add_f64 v[2:3], v[2:3], v[50:51]
	v_add_f64 v[0:1], v[0:1], v[48:49]
	v_lshl_add_u32 v4, v4, 4, v196
	v_add_f64 v[128:129], v[180:181], v[128:129]
	v_add_f64 v[78:79], v[84:85], v[72:73]
	ds_write_b128 v4, v[0:3]
	ds_write_b128 v4, v[78:81] offset:16
	ds_write_b128 v4, v[110:113] offset:32
	;; [unrolled: 1-line block ×12, first 2 shown]
.LBB0_7:
	s_or_b64 exec, exec, s[48:49]
	s_mov_b64 s[0:1], 0x82
	v_lshl_add_u64 v[120:121], v[194:195], 0, s[0:1]
	s_mov_b64 s[0:1], 0xc3
	v_lshl_add_u64 v[118:119], v[194:195], 0, s[0:1]
	;; [unrolled: 2-line block ×3, first 2 shown]
	s_movk_i32 s0, 0x4f
	v_mul_lo_u16_sdwa v101, v194, s0 dst_sel:DWORD dst_unused:UNUSED_PAD src0_sel:BYTE_0 src1_sel:DWORD
	v_lshlrev_b32_e32 v102, 4, v194
	v_mov_b32_e32 v103, 0
	v_lshrrev_b16_e32 v101, 10, v101
	v_lshl_add_u64 v[140:141], s[16:17], 0, v[102:103]
	v_mul_lo_u16_e32 v102, 13, v101
	v_sub_u16_e32 v102, v194, v102
	v_mov_b32_e32 v106, 6
	v_lshlrev_b32_sdwa v104, v106, v102 dst_sel:DWORD dst_unused:UNUSED_PAD src0_sel:DWORD src1_sel:BYTE_0
	s_waitcnt lgkmcnt(0)
	s_barrier
	ds_read_b128 v[16:19], v182
	ds_read_b128 v[96:99], v182 offset:5200
	ds_read_b128 v[92:95], v182 offset:10400
	;; [unrolled: 1-line block ×24, first 2 shown]
	global_load_dwordx4 v[108:111], v104, s[2:3] offset:48
	global_load_dwordx4 v[112:115], v104, s[2:3] offset:32
	;; [unrolled: 1-line block ×3, first 2 shown]
	global_load_dwordx4 v[126:129], v104, s[2:3]
	s_mov_b32 s8, 0x134454ff
	s_mov_b32 s9, 0x3fee6f0e
	s_mov_b32 s12, 0x4755a5e
	s_mov_b32 s17, 0xbfee6f0e
	s_mov_b32 s16, s8
	s_mov_b32 s13, 0x3fe2cf23
	s_mov_b32 s14, 0x372fe950
	s_mov_b32 s19, 0xbfe2cf23
	s_mov_b32 s18, s12
	s_mov_b32 s15, 0x3fd3c6ef
	v_mul_u32_u24_e32 v101, 0x41, v101
	v_add_u32_sdwa v101, v101, v102 dst_sel:DWORD dst_unused:UNUSED_PAD src0_sel:DWORD src1_sel:BYTE_0
	v_lshl_add_u32 v101, v101, 4, v196
	v_lshlrev_b32_e32 v102, 6, v194
	v_accvgpr_write_b32 a172, v101
	s_mov_b64 s[20:21], 0x1380
	s_movk_i32 s22, 0x1000
	s_waitcnt vmcnt(3)
	v_accvgpr_write_b32 a60, v108
	s_waitcnt vmcnt(2)
	v_accvgpr_write_b32 a64, v112
	s_waitcnt vmcnt(1)
	v_accvgpr_write_b32 a68, v122
	s_waitcnt vmcnt(0) lgkmcnt(14)
	v_mul_f64 v[104:105], v[98:99], v[128:129]
	v_fma_f64 v[104:105], v[96:97], v[126:127], -v[104:105]
	v_mul_f64 v[96:97], v[96:97], v[128:129]
	v_fmac_f64_e32 v[96:97], v[98:99], v[126:127]
	v_mul_f64 v[98:99], v[94:95], v[124:125]
	v_fma_f64 v[98:99], v[92:93], v[122:123], -v[98:99]
	v_mul_f64 v[92:93], v[92:93], v[124:125]
	v_fmac_f64_e32 v[92:93], v[94:95], v[122:123]
	;; [unrolled: 4-line block ×4, first 2 shown]
	v_mul_lo_u16_sdwa v86, v100, s0 dst_sel:DWORD dst_unused:UNUSED_PAD src0_sel:BYTE_0 src1_sel:DWORD
	v_lshrrev_b16_e32 v117, 10, v86
	v_mul_lo_u16_e32 v86, 13, v117
	v_sub_u16_e32 v119, v100, v86
	v_accvgpr_write_b32 a72, v126
	v_lshlrev_b32_sdwa v86, v106, v119 dst_sel:DWORD dst_unused:UNUSED_PAD src0_sel:DWORD src1_sel:BYTE_0
	v_accvgpr_write_b32 a73, v127
	v_accvgpr_write_b32 a74, v128
	;; [unrolled: 1-line block ×12, first 2 shown]
	global_load_dwordx4 v[108:111], v86, s[2:3] offset:48
	global_load_dwordx4 v[112:115], v86, s[2:3] offset:32
	;; [unrolled: 1-line block ×3, first 2 shown]
	global_load_dwordx4 v[126:129], v86, s[2:3]
	s_waitcnt vmcnt(3)
	v_accvgpr_write_b32 a76, v108
	v_accvgpr_write_b32 a77, v109
	s_waitcnt vmcnt(1)
	v_accvgpr_write_b32 a84, v122
	s_waitcnt vmcnt(0)
	v_mul_f64 v[86:87], v[82:83], v[128:129]
	v_fma_f64 v[86:87], v[80:81], v[126:127], -v[86:87]
	v_mul_f64 v[80:81], v[80:81], v[128:129]
	v_fmac_f64_e32 v[80:81], v[82:83], v[126:127]
	v_mul_f64 v[82:83], v[78:79], v[124:125]
	v_fma_f64 v[82:83], v[76:77], v[122:123], -v[82:83]
	v_mul_f64 v[76:77], v[76:77], v[124:125]
	v_fmac_f64_e32 v[76:77], v[78:79], v[122:123]
	;; [unrolled: 4-line block ×4, first 2 shown]
	v_mul_lo_u16_sdwa v70, v120, s0 dst_sel:DWORD dst_unused:UNUSED_PAD src0_sel:BYTE_0 src1_sel:DWORD
	v_lshrrev_b16_e32 v121, 10, v70
	v_mul_lo_u16_e32 v70, 13, v121
	v_sub_u16_e32 v146, v120, v70
	v_accvgpr_write_b32 a88, v126
	v_lshlrev_b32_sdwa v70, v106, v146 dst_sel:DWORD dst_unused:UNUSED_PAD src0_sel:DWORD src1_sel:BYTE_0
	v_accvgpr_write_b32 a89, v127
	v_accvgpr_write_b32 a90, v128
	;; [unrolled: 1-line block ×8, first 2 shown]
	global_load_dwordx4 v[122:125], v70, s[2:3] offset:48
	global_load_dwordx4 v[126:129], v70, s[2:3] offset:32
	;; [unrolled: 1-line block ×3, first 2 shown]
	global_load_dwordx4 v[130:133], v70, s[2:3]
	v_accvgpr_write_b32 a80, v112
	v_accvgpr_write_b32 a81, v113
	;; [unrolled: 1-line block ×4, first 2 shown]
	s_movk_i32 s0, 0x4ec5
	s_waitcnt vmcnt(3)
	v_accvgpr_write_b32 a92, v122
	s_waitcnt vmcnt(2)
	v_accvgpr_write_b32 a96, v126
	s_waitcnt vmcnt(1) lgkmcnt(12)
	v_mul_f64 v[106:107], v[60:61], v[110:111]
	s_waitcnt vmcnt(0)
	v_mul_f64 v[70:71], v[66:67], v[132:133]
	v_fma_f64 v[112:113], v[64:65], v[130:131], -v[70:71]
	v_mul_f64 v[70:71], v[64:65], v[132:133]
	v_mul_f64 v[64:65], v[62:63], v[110:111]
	v_fmac_f64_e32 v[70:71], v[66:67], v[130:131]
	v_fma_f64 v[66:67], v[60:61], v[108:109], -v[64:65]
	v_accvgpr_write_b32 a100, v108
	s_waitcnt lgkmcnt(11)
	v_mul_f64 v[60:61], v[58:59], v[128:129]
	v_accvgpr_write_b32 a101, v109
	v_accvgpr_write_b32 a102, v110
	;; [unrolled: 1-line block ×3, first 2 shown]
	v_fmac_f64_e32 v[106:107], v[62:63], v[108:109]
	v_fma_f64 v[114:115], v[56:57], v[126:127], -v[60:61]
	v_mul_f64 v[108:109], v[56:57], v[128:129]
	s_waitcnt lgkmcnt(10)
	v_mul_f64 v[56:57], v[54:55], v[124:125]
	v_fma_f64 v[62:63], v[52:53], v[122:123], -v[56:57]
	v_mul_f64 v[110:111], v[52:53], v[124:125]
	v_mul_u32_u24_sdwa v52, v118, s0 dst_sel:DWORD dst_unused:UNUSED_PAD src0_sel:WORD_0 src1_sel:DWORD
	v_lshrrev_b32_e32 v147, 18, v52
	v_mul_lo_u16_e32 v52, 13, v147
	v_sub_u16_e32 v152, v118, v52
	v_lshlrev_b16_e32 v52, 2, v152
	v_accvgpr_write_b32 a104, v130
	v_lshlrev_b32_e32 v52, 4, v52
	v_accvgpr_write_b32 a105, v131
	v_accvgpr_write_b32 a106, v132
	;; [unrolled: 1-line block ×6, first 2 shown]
	v_fmac_f64_e32 v[108:109], v[58:59], v[126:127]
	v_fmac_f64_e32 v[110:111], v[54:55], v[122:123]
	global_load_dwordx4 v[54:57], v52, s[2:3] offset:48
	global_load_dwordx4 v[58:61], v52, s[2:3] offset:32
	global_load_dwordx4 v[126:129], v52, s[2:3] offset:16
	global_load_dwordx4 v[132:135], v52, s[2:3]
	v_accvgpr_write_b32 a93, v123
	v_accvgpr_write_b32 a94, v124
	;; [unrolled: 1-line block ×3, first 2 shown]
	v_add_f64 v[64:65], v[112:113], -v[66:67]
	s_waitcnt vmcnt(3)
	v_accvgpr_write_b32 a111, v57
	v_accvgpr_write_b32 a110, v56
	s_waitcnt vmcnt(1) lgkmcnt(7)
	v_mul_f64 v[124:125], v[44:45], v[128:129]
	s_waitcnt vmcnt(0)
	v_mul_f64 v[52:53], v[50:51], v[134:135]
	v_fma_f64 v[130:131], v[48:49], v[132:133], -v[52:53]
	v_mul_f64 v[122:123], v[48:49], v[134:135]
	v_accvgpr_write_b32 a120, v132
	v_mul_f64 v[48:49], v[46:47], v[128:129]
	v_accvgpr_write_b32 a121, v133
	v_accvgpr_write_b32 a122, v134
	;; [unrolled: 1-line block ×3, first 2 shown]
	v_fmac_f64_e32 v[122:123], v[50:51], v[132:133]
	v_fma_f64 v[132:133], v[44:45], v[126:127], -v[48:49]
	v_accvgpr_write_b32 a116, v126
	s_waitcnt lgkmcnt(6)
	v_mul_f64 v[44:45], v[42:43], v[60:61]
	v_accvgpr_write_b32 a117, v127
	v_accvgpr_write_b32 a118, v128
	;; [unrolled: 1-line block ×3, first 2 shown]
	v_fmac_f64_e32 v[124:125], v[46:47], v[126:127]
	v_fma_f64 v[134:135], v[40:41], v[58:59], -v[44:45]
	v_mul_f64 v[126:127], v[40:41], v[60:61]
	s_waitcnt lgkmcnt(5)
	v_mul_f64 v[40:41], v[38:39], v[56:57]
	v_fma_f64 v[136:137], v[36:37], v[54:55], -v[40:41]
	v_mul_f64 v[128:129], v[36:37], v[56:57]
	v_mul_u32_u24_sdwa v36, v116, s0 dst_sel:DWORD dst_unused:UNUSED_PAD src0_sel:WORD_0 src1_sel:DWORD
	v_lshrrev_b32_e32 v153, 18, v36
	v_mul_lo_u16_e32 v36, 13, v153
	v_sub_u16_e32 v154, v116, v36
	v_lshlrev_b16_e32 v36, 2, v154
	v_lshlrev_b32_e32 v36, 4, v36
	v_fmac_f64_e32 v[126:127], v[42:43], v[58:59]
	v_fmac_f64_e32 v[128:129], v[38:39], v[54:55]
	global_load_dwordx4 v[38:41], v36, s[2:3] offset:48
	global_load_dwordx4 v[42:45], v36, s[2:3] offset:32
	;; [unrolled: 1-line block ×3, first 2 shown]
	global_load_dwordx4 v[50:53], v36, s[2:3]
	v_accvgpr_write_b32 a109, v55
	v_accvgpr_write_b32 a108, v54
	v_add_f64 v[54:55], v[82:83], -v[78:79]
	v_add_f64 v[56:57], v[68:69], -v[72:73]
	v_accvgpr_write_b32 a115, v61
	v_accvgpr_write_b32 a114, v60
	;; [unrolled: 1-line block ×4, first 2 shown]
	v_add_f64 v[58:59], v[72:73], -v[68:69]
	s_waitcnt lgkmcnt(0)
	s_barrier
	s_movk_i32 s0, 0x41
	s_waitcnt vmcnt(3)
	v_mul_f64 v[150:151], v[20:21], v[40:41]
	s_waitcnt vmcnt(2)
	v_mul_f64 v[148:149], v[24:25], v[44:45]
	;; [unrolled: 2-line block ×4, first 2 shown]
	v_fma_f64 v[156:157], v[32:33], v[50:51], -v[36:37]
	v_mul_f64 v[138:139], v[32:33], v[52:53]
	v_mul_f64 v[32:33], v[30:31], v[48:49]
	v_fma_f64 v[158:159], v[28:29], v[46:47], -v[32:33]
	v_mul_f64 v[28:29], v[26:27], v[44:45]
	v_fma_f64 v[164:165], v[24:25], v[42:43], -v[28:29]
	;; [unrolled: 2-line block ×3, first 2 shown]
	v_add_f64 v[20:21], v[16:17], v[104:105]
	v_add_f64 v[20:21], v[20:21], v[98:99]
	;; [unrolled: 1-line block ×5, first 2 shown]
	v_fmac_f64_e32 v[150:151], v[22:23], v[38:39]
	v_fma_f64 v[20:21], -0.5, v[20:21], v[16:17]
	v_add_f64 v[22:23], v[96:97], -v[84:85]
	v_fmac_f64_e32 v[142:143], v[30:31], v[46:47]
	v_fmac_f64_e32 v[148:149], v[26:27], v[42:43]
	v_fma_f64 v[28:29], s[8:9], v[22:23], v[20:21]
	v_add_f64 v[26:27], v[92:93], -v[88:89]
	v_add_f64 v[30:31], v[104:105], -v[98:99]
	;; [unrolled: 1-line block ×3, first 2 shown]
	v_fmac_f64_e32 v[20:21], s[16:17], v[22:23]
	v_fmac_f64_e32 v[28:29], s[12:13], v[26:27]
	v_add_f64 v[30:31], v[30:31], v[32:33]
	v_fmac_f64_e32 v[20:21], s[18:19], v[26:27]
	v_fmac_f64_e32 v[28:29], s[14:15], v[30:31]
	;; [unrolled: 1-line block ×3, first 2 shown]
	v_add_f64 v[30:31], v[104:105], v[90:91]
	v_fmac_f64_e32 v[16:17], -0.5, v[30:31]
	v_fma_f64 v[32:33], s[16:17], v[26:27], v[16:17]
	v_fmac_f64_e32 v[16:17], s[8:9], v[26:27]
	v_fmac_f64_e32 v[32:33], s[12:13], v[22:23]
	;; [unrolled: 1-line block ×3, first 2 shown]
	v_add_f64 v[22:23], v[18:19], v[96:97]
	v_add_f64 v[22:23], v[22:23], v[92:93]
	;; [unrolled: 1-line block ×3, first 2 shown]
	v_fmac_f64_e32 v[138:139], v[34:35], v[50:51]
	v_add_f64 v[30:31], v[98:99], -v[104:105]
	v_add_f64 v[34:35], v[94:95], -v[90:91]
	v_add_f64 v[26:27], v[22:23], v[84:85]
	v_add_f64 v[22:23], v[92:93], v[88:89]
	v_accvgpr_write_b32 a127, v41
	v_add_f64 v[30:31], v[30:31], v[34:35]
	v_fma_f64 v[22:23], -0.5, v[22:23], v[18:19]
	v_add_f64 v[36:37], v[104:105], -v[90:91]
	v_accvgpr_write_b32 a126, v40
	v_accvgpr_write_b32 a125, v39
	v_accvgpr_write_b32 a124, v38
	v_fmac_f64_e32 v[32:33], s[14:15], v[30:31]
	v_fmac_f64_e32 v[16:17], s[14:15], v[30:31]
	v_fma_f64 v[30:31], s[16:17], v[36:37], v[22:23]
	v_add_f64 v[38:39], v[98:99], -v[94:95]
	v_add_f64 v[34:35], v[96:97], -v[92:93]
	;; [unrolled: 1-line block ×3, first 2 shown]
	v_fmac_f64_e32 v[22:23], s[8:9], v[36:37]
	v_fmac_f64_e32 v[30:31], s[18:19], v[38:39]
	v_add_f64 v[34:35], v[34:35], v[40:41]
	v_fmac_f64_e32 v[22:23], s[12:13], v[38:39]
	v_fmac_f64_e32 v[30:31], s[14:15], v[34:35]
	;; [unrolled: 1-line block ×3, first 2 shown]
	v_add_f64 v[34:35], v[96:97], v[84:85]
	v_fmac_f64_e32 v[18:19], -0.5, v[34:35]
	v_fma_f64 v[34:35], s[8:9], v[38:39], v[18:19]
	v_fmac_f64_e32 v[18:19], s[16:17], v[38:39]
	v_accvgpr_write_b32 a135, v45
	v_fmac_f64_e32 v[34:35], s[18:19], v[36:37]
	v_fmac_f64_e32 v[18:19], s[12:13], v[36:37]
	v_add_f64 v[36:37], v[12:13], v[86:87]
	v_accvgpr_write_b32 a134, v44
	v_accvgpr_write_b32 a133, v43
	;; [unrolled: 1-line block ×3, first 2 shown]
	v_add_f64 v[40:41], v[92:93], -v[96:97]
	v_add_f64 v[42:43], v[88:89], -v[84:85]
	v_add_f64 v[36:37], v[36:37], v[82:83]
	v_add_f64 v[40:41], v[40:41], v[42:43]
	;; [unrolled: 1-line block ×3, first 2 shown]
	v_fmac_f64_e32 v[34:35], s[14:15], v[40:41]
	v_fmac_f64_e32 v[18:19], s[14:15], v[40:41]
	v_add_f64 v[40:41], v[36:37], v[74:75]
	v_add_f64 v[36:37], v[82:83], v[78:79]
	v_accvgpr_write_b32 a143, v49
	v_fma_f64 v[36:37], -0.5, v[36:37], v[12:13]
	v_add_f64 v[38:39], v[80:81], -v[68:69]
	v_accvgpr_write_b32 a142, v48
	v_accvgpr_write_b32 a141, v47
	;; [unrolled: 1-line block ×3, first 2 shown]
	v_fma_f64 v[44:45], s[8:9], v[38:39], v[36:37]
	v_add_f64 v[42:43], v[76:77], -v[72:73]
	v_add_f64 v[46:47], v[86:87], -v[82:83]
	;; [unrolled: 1-line block ×3, first 2 shown]
	v_fmac_f64_e32 v[36:37], s[16:17], v[38:39]
	v_fmac_f64_e32 v[44:45], s[12:13], v[42:43]
	v_add_f64 v[46:47], v[46:47], v[48:49]
	v_fmac_f64_e32 v[36:37], s[18:19], v[42:43]
	v_fmac_f64_e32 v[44:45], s[14:15], v[46:47]
	;; [unrolled: 1-line block ×3, first 2 shown]
	v_add_f64 v[46:47], v[86:87], v[74:75]
	v_fmac_f64_e32 v[12:13], -0.5, v[46:47]
	v_fma_f64 v[48:49], s[16:17], v[42:43], v[12:13]
	v_fmac_f64_e32 v[12:13], s[8:9], v[42:43]
	v_fmac_f64_e32 v[48:49], s[12:13], v[38:39]
	;; [unrolled: 1-line block ×3, first 2 shown]
	v_add_f64 v[38:39], v[14:15], v[80:81]
	v_add_f64 v[38:39], v[38:39], v[76:77]
	v_accvgpr_write_b32 a151, v53
	v_add_f64 v[38:39], v[38:39], v[72:73]
	v_accvgpr_write_b32 a150, v52
	v_accvgpr_write_b32 a149, v51
	v_accvgpr_write_b32 a148, v50
	v_add_f64 v[46:47], v[82:83], -v[86:87]
	v_add_f64 v[50:51], v[78:79], -v[74:75]
	v_add_f64 v[42:43], v[38:39], v[68:69]
	v_add_f64 v[38:39], v[76:77], v[72:73]
	;; [unrolled: 1-line block ×3, first 2 shown]
	v_fma_f64 v[38:39], -0.5, v[38:39], v[14:15]
	v_add_f64 v[52:53], v[86:87], -v[74:75]
	v_fmac_f64_e32 v[48:49], s[14:15], v[46:47]
	v_fmac_f64_e32 v[12:13], s[14:15], v[46:47]
	v_fma_f64 v[46:47], s[16:17], v[52:53], v[38:39]
	v_add_f64 v[50:51], v[80:81], -v[76:77]
	v_fmac_f64_e32 v[38:39], s[8:9], v[52:53]
	v_fmac_f64_e32 v[46:47], s[18:19], v[54:55]
	v_add_f64 v[50:51], v[50:51], v[56:57]
	v_fmac_f64_e32 v[38:39], s[12:13], v[54:55]
	v_fmac_f64_e32 v[46:47], s[14:15], v[50:51]
	;; [unrolled: 1-line block ×3, first 2 shown]
	v_add_f64 v[50:51], v[80:81], v[68:69]
	v_fmac_f64_e32 v[14:15], -0.5, v[50:51]
	v_fma_f64 v[50:51], s[8:9], v[54:55], v[14:15]
	v_fmac_f64_e32 v[14:15], s[16:17], v[54:55]
	v_fmac_f64_e32 v[50:51], s[18:19], v[52:53]
	;; [unrolled: 1-line block ×3, first 2 shown]
	v_add_f64 v[52:53], v[8:9], v[112:113]
	v_add_f64 v[56:57], v[76:77], -v[80:81]
	v_add_f64 v[52:53], v[52:53], v[66:67]
	v_add_f64 v[56:57], v[56:57], v[58:59]
	;; [unrolled: 1-line block ×3, first 2 shown]
	v_fmac_f64_e32 v[50:51], s[14:15], v[56:57]
	v_fmac_f64_e32 v[14:15], s[14:15], v[56:57]
	v_add_f64 v[56:57], v[52:53], v[62:63]
	v_add_f64 v[52:53], v[66:67], v[114:115]
	v_fma_f64 v[52:53], -0.5, v[52:53], v[8:9]
	v_add_f64 v[54:55], v[70:71], -v[110:111]
	v_fma_f64 v[60:61], s[8:9], v[54:55], v[52:53]
	v_add_f64 v[58:59], v[106:107], -v[108:109]
	v_add_f64 v[68:69], v[62:63], -v[114:115]
	v_fmac_f64_e32 v[52:53], s[16:17], v[54:55]
	v_fmac_f64_e32 v[60:61], s[12:13], v[58:59]
	v_add_f64 v[64:65], v[64:65], v[68:69]
	v_fmac_f64_e32 v[52:53], s[18:19], v[58:59]
	v_fmac_f64_e32 v[60:61], s[14:15], v[64:65]
	;; [unrolled: 1-line block ×3, first 2 shown]
	v_add_f64 v[64:65], v[112:113], v[62:63]
	v_fmac_f64_e32 v[8:9], -0.5, v[64:65]
	v_fma_f64 v[64:65], s[16:17], v[58:59], v[8:9]
	v_fmac_f64_e32 v[8:9], s[8:9], v[58:59]
	v_fmac_f64_e32 v[64:65], s[12:13], v[54:55]
	;; [unrolled: 1-line block ×3, first 2 shown]
	v_add_f64 v[54:55], v[10:11], v[70:71]
	v_add_f64 v[54:55], v[54:55], v[106:107]
	v_add_f64 v[68:69], v[66:67], -v[112:113]
	v_add_f64 v[72:73], v[114:115], -v[62:63]
	v_add_f64 v[54:55], v[54:55], v[108:109]
	v_add_f64 v[68:69], v[68:69], v[72:73]
	;; [unrolled: 1-line block ×4, first 2 shown]
	v_fmac_f64_e32 v[64:65], s[14:15], v[68:69]
	v_fmac_f64_e32 v[8:9], s[14:15], v[68:69]
	v_fma_f64 v[54:55], -0.5, v[54:55], v[10:11]
	v_add_f64 v[68:69], v[112:113], -v[62:63]
	v_fma_f64 v[62:63], s[16:17], v[68:69], v[54:55]
	v_add_f64 v[72:73], v[66:67], -v[114:115]
	v_add_f64 v[66:67], v[70:71], -v[106:107]
	;; [unrolled: 1-line block ×3, first 2 shown]
	v_fmac_f64_e32 v[54:55], s[8:9], v[68:69]
	v_fmac_f64_e32 v[62:63], s[18:19], v[72:73]
	v_add_f64 v[66:67], v[66:67], v[74:75]
	v_fmac_f64_e32 v[54:55], s[12:13], v[72:73]
	v_fmac_f64_e32 v[62:63], s[14:15], v[66:67]
	;; [unrolled: 1-line block ×3, first 2 shown]
	v_add_f64 v[66:67], v[70:71], v[110:111]
	v_fmac_f64_e32 v[10:11], -0.5, v[66:67]
	v_fma_f64 v[66:67], s[8:9], v[72:73], v[10:11]
	v_fmac_f64_e32 v[10:11], s[16:17], v[72:73]
	v_fmac_f64_e32 v[66:67], s[18:19], v[68:69]
	;; [unrolled: 1-line block ×3, first 2 shown]
	v_add_f64 v[68:69], v[4:5], v[130:131]
	v_add_f64 v[68:69], v[68:69], v[132:133]
	v_add_f64 v[70:71], v[106:107], -v[70:71]
	v_add_f64 v[74:75], v[108:109], -v[110:111]
	v_add_f64 v[68:69], v[68:69], v[134:135]
	v_add_f64 v[70:71], v[70:71], v[74:75]
	;; [unrolled: 1-line block ×4, first 2 shown]
	v_fmac_f64_e32 v[66:67], s[14:15], v[70:71]
	v_fmac_f64_e32 v[10:11], s[14:15], v[70:71]
	v_fma_f64 v[68:69], -0.5, v[68:69], v[4:5]
	v_add_f64 v[70:71], v[122:123], -v[128:129]
	v_fma_f64 v[76:77], s[8:9], v[70:71], v[68:69]
	v_add_f64 v[74:75], v[124:125], -v[126:127]
	v_add_f64 v[78:79], v[130:131], -v[132:133]
	;; [unrolled: 1-line block ×3, first 2 shown]
	v_fmac_f64_e32 v[68:69], s[16:17], v[70:71]
	v_fmac_f64_e32 v[76:77], s[12:13], v[74:75]
	v_add_f64 v[78:79], v[78:79], v[80:81]
	v_fmac_f64_e32 v[68:69], s[18:19], v[74:75]
	v_fmac_f64_e32 v[76:77], s[14:15], v[78:79]
	;; [unrolled: 1-line block ×3, first 2 shown]
	v_add_f64 v[78:79], v[130:131], v[136:137]
	v_fmac_f64_e32 v[4:5], -0.5, v[78:79]
	v_fma_f64 v[80:81], s[16:17], v[74:75], v[4:5]
	v_fmac_f64_e32 v[4:5], s[8:9], v[74:75]
	v_fmac_f64_e32 v[80:81], s[12:13], v[70:71]
	;; [unrolled: 1-line block ×3, first 2 shown]
	v_add_f64 v[70:71], v[6:7], v[122:123]
	v_add_f64 v[70:71], v[70:71], v[124:125]
	;; [unrolled: 1-line block ×3, first 2 shown]
	v_add_f64 v[78:79], v[132:133], -v[130:131]
	v_add_f64 v[82:83], v[134:135], -v[136:137]
	v_add_f64 v[74:75], v[70:71], v[128:129]
	v_add_f64 v[70:71], v[124:125], v[126:127]
	;; [unrolled: 1-line block ×3, first 2 shown]
	v_fma_f64 v[70:71], -0.5, v[70:71], v[6:7]
	v_add_f64 v[84:85], v[130:131], -v[136:137]
	v_fmac_f64_e32 v[80:81], s[14:15], v[78:79]
	v_fmac_f64_e32 v[4:5], s[14:15], v[78:79]
	v_fma_f64 v[78:79], s[16:17], v[84:85], v[70:71]
	v_add_f64 v[86:87], v[132:133], -v[134:135]
	v_add_f64 v[82:83], v[122:123], -v[124:125]
	v_add_f64 v[88:89], v[128:129], -v[126:127]
	v_fmac_f64_e32 v[70:71], s[8:9], v[84:85]
	v_fmac_f64_e32 v[78:79], s[18:19], v[86:87]
	v_add_f64 v[82:83], v[82:83], v[88:89]
	v_fmac_f64_e32 v[70:71], s[12:13], v[86:87]
	v_fmac_f64_e32 v[78:79], s[14:15], v[82:83]
	;; [unrolled: 1-line block ×3, first 2 shown]
	v_add_f64 v[82:83], v[122:123], v[128:129]
	v_fmac_f64_e32 v[6:7], -0.5, v[82:83]
	v_fma_f64 v[82:83], s[8:9], v[86:87], v[6:7]
	v_add_f64 v[88:89], v[124:125], -v[122:123]
	v_add_f64 v[90:91], v[126:127], -v[128:129]
	v_fmac_f64_e32 v[6:7], s[16:17], v[86:87]
	v_fmac_f64_e32 v[82:83], s[18:19], v[84:85]
	v_add_f64 v[88:89], v[88:89], v[90:91]
	v_fmac_f64_e32 v[6:7], s[12:13], v[84:85]
	v_add_f64 v[86:87], v[158:159], v[164:165]
	v_fmac_f64_e32 v[82:83], s[14:15], v[88:89]
	v_fmac_f64_e32 v[6:7], s[14:15], v[88:89]
	v_fma_f64 v[88:89], -0.5, v[86:87], v[0:1]
	v_add_f64 v[86:87], v[138:139], -v[150:151]
	v_fma_f64 v[92:93], s[8:9], v[86:87], v[88:89]
	v_add_f64 v[90:91], v[142:143], -v[148:149]
	v_add_f64 v[94:95], v[156:157], -v[158:159]
	;; [unrolled: 1-line block ×3, first 2 shown]
	v_fmac_f64_e32 v[88:89], s[16:17], v[86:87]
	v_fmac_f64_e32 v[92:93], s[12:13], v[90:91]
	v_add_f64 v[94:95], v[94:95], v[96:97]
	v_fmac_f64_e32 v[88:89], s[18:19], v[90:91]
	v_fmac_f64_e32 v[92:93], s[14:15], v[94:95]
	;; [unrolled: 1-line block ×3, first 2 shown]
	v_add_f64 v[94:95], v[156:157], v[166:167]
	v_add_f64 v[84:85], v[0:1], v[156:157]
	v_fmac_f64_e32 v[0:1], -0.5, v[94:95]
	ds_write_b128 v101, v[24:27]
	ds_write_b128 v101, v[28:31] offset:208
	ds_write_b128 v101, v[32:35] offset:416
	;; [unrolled: 1-line block ×3, first 2 shown]
	v_mul_u32_u24_e32 v16, 0x41, v117
	v_fma_f64 v[96:97], s[16:17], v[90:91], v[0:1]
	v_add_f64 v[94:95], v[158:159], -v[156:157]
	v_add_f64 v[98:99], v[164:165], -v[166:167]
	v_fmac_f64_e32 v[0:1], s[8:9], v[90:91]
	v_add_f64 v[90:91], v[142:143], v[148:149]
	v_add_u32_sdwa v16, v16, v119 dst_sel:DWORD dst_unused:UNUSED_PAD src0_sel:DWORD src1_sel:BYTE_0
	v_fmac_f64_e32 v[96:97], s[12:13], v[86:87]
	v_add_f64 v[94:95], v[94:95], v[98:99]
	v_fmac_f64_e32 v[0:1], s[18:19], v[86:87]
	v_fma_f64 v[90:91], -0.5, v[90:91], v[2:3]
	v_add_f64 v[104:105], v[156:157], -v[166:167]
	v_lshl_add_u32 v199, v16, 4, v196
	v_fmac_f64_e32 v[96:97], s[14:15], v[94:95]
	v_fmac_f64_e32 v[0:1], s[14:15], v[94:95]
	v_fma_f64 v[94:95], s[16:17], v[104:105], v[90:91]
	v_add_f64 v[106:107], v[158:159], -v[164:165]
	v_add_f64 v[98:99], v[138:139], -v[142:143]
	;; [unrolled: 1-line block ×3, first 2 shown]
	v_fmac_f64_e32 v[90:91], s[8:9], v[104:105]
	ds_write_b128 v101, v[20:23] offset:832
	ds_write_b128 v199, v[40:43]
	ds_write_b128 v199, v[44:47] offset:208
	ds_write_b128 v199, v[48:51] offset:416
	;; [unrolled: 1-line block ×4, first 2 shown]
	v_mul_u32_u24_e32 v12, 0x41, v121
	v_fmac_f64_e32 v[94:95], s[18:19], v[106:107]
	v_add_f64 v[98:99], v[98:99], v[108:109]
	v_fmac_f64_e32 v[90:91], s[12:13], v[106:107]
	v_add_u32_sdwa v12, v12, v146 dst_sel:DWORD dst_unused:UNUSED_PAD src0_sel:DWORD src1_sel:BYTE_0
	v_fmac_f64_e32 v[94:95], s[14:15], v[98:99]
	v_fmac_f64_e32 v[90:91], s[14:15], v[98:99]
	v_add_f64 v[98:99], v[138:139], v[150:151]
	v_lshl_add_u32 v198, v12, 4, v196
	v_add_f64 v[86:87], v[2:3], v[138:139]
	v_fmac_f64_e32 v[2:3], -0.5, v[98:99]
	ds_write_b128 v198, v[56:59]
	ds_write_b128 v198, v[60:63] offset:208
	ds_write_b128 v198, v[64:67] offset:416
	;; [unrolled: 1-line block ×4, first 2 shown]
	v_mad_legacy_u16 v8, v147, s0, v152
	v_add_f64 v[84:85], v[84:85], v[158:159]
	v_add_f64 v[86:87], v[86:87], v[142:143]
	v_fma_f64 v[98:99], s[8:9], v[106:107], v[2:3]
	v_add_f64 v[108:109], v[142:143], -v[138:139]
	v_add_f64 v[110:111], v[148:149], -v[150:151]
	v_fmac_f64_e32 v[2:3], s[16:17], v[106:107]
	v_lshl_add_u32 v195, v8, 4, v196
	v_add_f64 v[84:85], v[84:85], v[164:165]
	v_add_f64 v[86:87], v[86:87], v[148:149]
	v_fmac_f64_e32 v[98:99], s[18:19], v[104:105]
	v_add_f64 v[108:109], v[108:109], v[110:111]
	v_fmac_f64_e32 v[2:3], s[12:13], v[104:105]
	ds_write_b128 v195, v[72:75]
	ds_write_b128 v195, v[76:79] offset:208
	ds_write_b128 v195, v[80:83] offset:416
	;; [unrolled: 1-line block ×4, first 2 shown]
	v_mad_legacy_u16 v4, v153, s0, v154
	v_add_f64 v[84:85], v[84:85], v[166:167]
	v_add_f64 v[86:87], v[86:87], v[150:151]
	v_fmac_f64_e32 v[98:99], s[14:15], v[108:109]
	v_fmac_f64_e32 v[2:3], s[14:15], v[108:109]
	v_lshl_add_u32 v197, v4, 4, v196
	ds_write_b128 v197, v[84:87]
	ds_write_b128 v197, v[92:95] offset:208
	ds_write_b128 v197, v[96:99] offset:416
	;; [unrolled: 1-line block ×4, first 2 shown]
	s_waitcnt lgkmcnt(0)
	s_barrier
	ds_read_b128 v[16:19], v182
	ds_read_b128 v[96:99], v182 offset:5200
	ds_read_b128 v[92:95], v182 offset:10400
	;; [unrolled: 1-line block ×24, first 2 shown]
	global_load_dwordx4 v[104:107], v102, s[2:3] offset:880
	global_load_dwordx4 v[108:111], v102, s[2:3] offset:864
	;; [unrolled: 1-line block ×4, first 2 shown]
	s_movk_i32 s0, 0xfd
	v_lshl_add_u64 v[122:123], s[2:3], 0, v[102:103]
	s_waitcnt vmcnt(3) lgkmcnt(14)
	v_mul_f64 v[142:143], v[84:85], v[106:107]
	s_waitcnt vmcnt(2)
	v_mul_f64 v[138:139], v[88:89], v[110:111]
	s_waitcnt vmcnt(1)
	;; [unrolled: 2-line block ×3, first 2 shown]
	v_mul_f64 v[128:129], v[98:99], v[126:127]
	v_fma_f64 v[200:201], v[96:97], v[124:125], -v[128:129]
	v_mul_f64 v[134:135], v[96:97], v[126:127]
	v_mul_f64 v[96:97], v[94:95], v[114:115]
	v_fma_f64 v[202:203], v[92:93], v[112:113], -v[96:97]
	v_mul_f64 v[92:93], v[90:91], v[110:111]
	v_fma_f64 v[204:205], v[88:89], v[108:109], -v[92:93]
	v_mul_f64 v[88:89], v[86:87], v[106:107]
	v_fmac_f64_e32 v[138:139], v[90:91], v[108:109]
	v_fma_f64 v[90:91], v[84:85], v[104:105], -v[88:89]
	v_mul_f64 v[84:85], v[82:83], v[126:127]
	v_fma_f64 v[128:129], v[80:81], v[124:125], -v[84:85]
	v_mul_f64 v[96:97], v[80:81], v[126:127]
	v_mul_f64 v[80:81], v[78:79], v[114:115]
	v_fmac_f64_e32 v[134:135], v[98:99], v[124:125]
	v_fma_f64 v[130:131], v[76:77], v[112:113], -v[80:81]
	v_mul_f64 v[98:99], v[76:77], v[114:115]
	v_mul_f64 v[76:77], v[74:75], v[110:111]
	v_fma_f64 v[132:133], v[72:73], v[108:109], -v[76:77]
	v_mul_f64 v[72:73], v[72:73], v[110:111]
	v_fmac_f64_e32 v[72:73], v[74:75], v[108:109]
	v_mul_f64 v[74:75], v[70:71], v[106:107]
	v_fma_f64 v[74:75], v[68:69], v[104:105], -v[74:75]
	v_mul_f64 v[68:69], v[68:69], v[106:107]
	v_fmac_f64_e32 v[68:69], v[70:71], v[104:105]
	v_mul_lo_u16_sdwa v70, v120, s0 dst_sel:DWORD dst_unused:UNUSED_PAD src0_sel:BYTE_0 src1_sel:DWORD
	v_lshrrev_b16_e32 v70, 14, v70
	v_mul_lo_u16_e32 v70, 0x41, v70
	v_sub_u16_e32 v70, v120, v70
	v_and_b32_e32 v101, 0xff, v70
	v_lshlrev_b32_e32 v70, 6, v101
	v_fmac_f64_e32 v[136:137], v[94:95], v[112:113]
	v_fmac_f64_e32 v[142:143], v[86:87], v[104:105]
	;; [unrolled: 1-line block ×4, first 2 shown]
	global_load_dwordx4 v[76:79], v70, s[2:3] offset:880
	global_load_dwordx4 v[80:83], v70, s[2:3] offset:864
	;; [unrolled: 1-line block ×4, first 2 shown]
	s_movk_i32 s0, 0xfc1
	s_waitcnt vmcnt(3)
	v_accvgpr_write_b32 a131, v79
	s_waitcnt vmcnt(2)
	v_accvgpr_write_b32 a139, v83
	s_waitcnt vmcnt(1)
	v_accvgpr_write_b32 a147, v87
	s_waitcnt vmcnt(0) lgkmcnt(13)
	v_mul_f64 v[70:71], v[66:67], v[94:95]
	v_fma_f64 v[70:71], v[64:65], v[92:93], -v[70:71]
	v_mul_f64 v[64:65], v[64:65], v[94:95]
	v_fmac_f64_e32 v[64:65], v[66:67], v[92:93]
	s_waitcnt lgkmcnt(12)
	v_mul_f64 v[66:67], v[62:63], v[86:87]
	v_fma_f64 v[66:67], v[60:61], v[84:85], -v[66:67]
	v_mul_f64 v[60:61], v[60:61], v[86:87]
	v_fmac_f64_e32 v[60:61], v[62:63], v[84:85]
	s_waitcnt lgkmcnt(11)
	;; [unrolled: 5-line block ×3, first 2 shown]
	v_mul_f64 v[58:59], v[54:55], v[78:79]
	v_fma_f64 v[58:59], v[52:53], v[76:77], -v[58:59]
	v_mul_f64 v[52:53], v[52:53], v[78:79]
	v_fmac_f64_e32 v[52:53], v[54:55], v[76:77]
	v_mul_u32_u24_sdwa v54, v118, s0 dst_sel:DWORD dst_unused:UNUSED_PAD src0_sel:WORD_0 src1_sel:DWORD
	v_lshrrev_b32_e32 v54, 18, v54
	v_mul_lo_u16_e32 v54, 0x41, v54
	v_sub_u16_e32 v117, v118, v54
	v_lshlrev_b16_e32 v102, 6, v117
	v_accvgpr_write_b32 a155, v95
	v_lshl_add_u64 v[54:55], s[2:3], 0, v[102:103]
	v_accvgpr_write_b32 a154, v94
	v_accvgpr_write_b32 a153, v93
	;; [unrolled: 1-line block ×12, first 2 shown]
	global_load_dwordx4 v[76:79], v[54:55], off offset:880
	global_load_dwordx4 v[80:83], v[54:55], off offset:864
	global_load_dwordx4 v[84:87], v[54:55], off offset:848
	global_load_dwordx4 v[92:95], v[54:55], off offset:832
	s_waitcnt vmcnt(3) lgkmcnt(5)
	v_mul_f64 v[212:213], v[36:37], v[78:79]
	s_waitcnt vmcnt(2)
	v_mul_f64 v[210:211], v[40:41], v[82:83]
	s_waitcnt vmcnt(1)
	v_mul_f64 v[208:209], v[44:45], v[86:87]
	s_waitcnt vmcnt(0)
	v_mul_f64 v[54:55], v[50:51], v[94:95]
	v_fma_f64 v[214:215], v[48:49], v[92:93], -v[54:55]
	v_mul_f64 v[206:207], v[48:49], v[94:95]
	v_mul_f64 v[48:49], v[46:47], v[86:87]
	v_fma_f64 v[216:217], v[44:45], v[84:85], -v[48:49]
	v_mul_f64 v[44:45], v[42:43], v[82:83]
	v_fma_f64 v[218:219], v[40:41], v[80:81], -v[44:45]
	v_mul_f64 v[40:41], v[38:39], v[78:79]
	v_fmac_f64_e32 v[206:207], v[50:51], v[92:93]
	v_fma_f64 v[50:51], v[36:37], v[76:77], -v[40:41]
	v_mul_u32_u24_sdwa v36, v116, s0 dst_sel:DWORD dst_unused:UNUSED_PAD src0_sel:WORD_0 src1_sel:DWORD
	v_lshrrev_b32_e32 v36, 18, v36
	v_mul_lo_u16_e32 v36, 0x41, v36
	v_sub_u16_e32 v119, v116, v36
	v_lshlrev_b16_e32 v102, 6, v119
	v_accvgpr_write_b32 a159, v79
	v_lshl_add_u64 v[36:37], s[2:3], 0, v[102:103]
	v_fmac_f64_e32 v[208:209], v[46:47], v[84:85]
	v_fmac_f64_e32 v[210:211], v[42:43], v[80:81]
	v_accvgpr_write_b32 a158, v78
	v_accvgpr_write_b32 a157, v77
	v_accvgpr_write_b32 a156, v76
	v_fmac_f64_e32 v[212:213], v[38:39], v[76:77]
	global_load_dwordx4 v[38:41], v[36:37], off offset:880
	global_load_dwordx4 v[42:45], v[36:37], off offset:864
	;; [unrolled: 1-line block ×4, first 2 shown]
	v_accvgpr_write_b32 a171, v95
	v_accvgpr_write_b32 a170, v94
	;; [unrolled: 1-line block ×12, first 2 shown]
	v_add_f64 v[54:55], v[208:209], -v[210:211]
	s_waitcnt lgkmcnt(0)
	s_barrier
	v_lshlrev_b32_e32 v102, 6, v100
	s_waitcnt vmcnt(3)
	v_mul_f64 v[156:157], v[20:21], v[40:41]
	s_waitcnt vmcnt(2)
	v_mul_f64 v[150:151], v[24:25], v[44:45]
	;; [unrolled: 2-line block ×4, first 2 shown]
	v_fma_f64 v[152:153], v[32:33], v[76:77], -v[36:37]
	v_mul_f64 v[146:147], v[32:33], v[78:79]
	v_mul_f64 v[32:33], v[30:31], v[48:49]
	v_fma_f64 v[154:155], v[28:29], v[46:47], -v[32:33]
	v_mul_f64 v[28:29], v[26:27], v[44:45]
	v_fma_f64 v[158:159], v[24:25], v[42:43], -v[28:29]
	;; [unrolled: 2-line block ×3, first 2 shown]
	v_add_f64 v[20:21], v[16:17], v[200:201]
	v_add_f64 v[20:21], v[20:21], v[202:203]
	;; [unrolled: 1-line block ×5, first 2 shown]
	v_fma_f64 v[80:81], -0.5, v[20:21], v[16:17]
	v_add_f64 v[20:21], v[134:135], -v[142:143]
	v_fmac_f64_e32 v[150:151], v[26:27], v[42:43]
	v_fmac_f64_e32 v[156:157], v[22:23], v[38:39]
	v_fma_f64 v[88:89], s[8:9], v[20:21], v[80:81]
	v_add_f64 v[22:23], v[136:137], -v[138:139]
	v_add_f64 v[24:25], v[200:201], -v[202:203]
	;; [unrolled: 1-line block ×3, first 2 shown]
	v_fmac_f64_e32 v[80:81], s[16:17], v[20:21]
	v_fmac_f64_e32 v[88:89], s[12:13], v[22:23]
	v_add_f64 v[24:25], v[24:25], v[26:27]
	v_fmac_f64_e32 v[80:81], s[18:19], v[22:23]
	v_fmac_f64_e32 v[88:89], s[14:15], v[24:25]
	;; [unrolled: 1-line block ×3, first 2 shown]
	v_add_f64 v[24:25], v[200:201], v[90:91]
	v_fmac_f64_e32 v[16:17], -0.5, v[24:25]
	v_fma_f64 v[84:85], s[16:17], v[22:23], v[16:17]
	v_fmac_f64_e32 v[16:17], s[8:9], v[22:23]
	v_fmac_f64_e32 v[84:85], s[12:13], v[20:21]
	;; [unrolled: 1-line block ×3, first 2 shown]
	v_add_f64 v[20:21], v[18:19], v[134:135]
	v_add_f64 v[20:21], v[20:21], v[136:137]
	;; [unrolled: 1-line block ×3, first 2 shown]
	v_add_f64 v[24:25], v[202:203], -v[200:201]
	v_add_f64 v[26:27], v[204:205], -v[90:91]
	v_add_f64 v[94:95], v[20:21], v[142:143]
	v_add_f64 v[20:21], v[136:137], v[138:139]
	;; [unrolled: 1-line block ×3, first 2 shown]
	v_fma_f64 v[82:83], -0.5, v[20:21], v[18:19]
	v_add_f64 v[20:21], v[200:201], -v[90:91]
	v_fmac_f64_e32 v[84:85], s[14:15], v[24:25]
	v_fmac_f64_e32 v[16:17], s[14:15], v[24:25]
	v_fma_f64 v[90:91], s[16:17], v[20:21], v[82:83]
	v_add_f64 v[22:23], v[202:203], -v[204:205]
	v_add_f64 v[24:25], v[134:135], -v[136:137]
	;; [unrolled: 1-line block ×3, first 2 shown]
	v_fmac_f64_e32 v[82:83], s[8:9], v[20:21]
	v_fmac_f64_e32 v[90:91], s[18:19], v[22:23]
	v_add_f64 v[24:25], v[24:25], v[26:27]
	v_fmac_f64_e32 v[82:83], s[12:13], v[22:23]
	v_fmac_f64_e32 v[90:91], s[14:15], v[24:25]
	;; [unrolled: 1-line block ×3, first 2 shown]
	v_add_f64 v[24:25], v[134:135], v[142:143]
	v_fmac_f64_e32 v[18:19], -0.5, v[24:25]
	v_fma_f64 v[86:87], s[8:9], v[22:23], v[18:19]
	v_fmac_f64_e32 v[18:19], s[16:17], v[22:23]
	v_fmac_f64_e32 v[86:87], s[18:19], v[20:21]
	;; [unrolled: 1-line block ×3, first 2 shown]
	v_add_f64 v[20:21], v[12:13], v[128:129]
	v_add_f64 v[20:21], v[20:21], v[130:131]
	;; [unrolled: 1-line block ×3, first 2 shown]
	v_add_f64 v[24:25], v[136:137], -v[134:135]
	v_add_f64 v[26:27], v[138:139], -v[142:143]
	v_add_f64 v[200:201], v[20:21], v[74:75]
	v_add_f64 v[20:21], v[130:131], v[132:133]
	v_accvgpr_write_b32 a189, v79
	v_add_f64 v[24:25], v[24:25], v[26:27]
	v_fma_f64 v[20:21], -0.5, v[20:21], v[12:13]
	v_add_f64 v[22:23], v[96:97], -v[68:69]
	v_accvgpr_write_b32 a188, v78
	v_accvgpr_write_b32 a187, v77
	;; [unrolled: 1-line block ×3, first 2 shown]
	v_fmac_f64_e32 v[146:147], v[34:35], v[76:77]
	v_fmac_f64_e32 v[86:87], s[14:15], v[24:25]
	;; [unrolled: 1-line block ×3, first 2 shown]
	v_fma_f64 v[76:77], s[8:9], v[22:23], v[20:21]
	v_add_f64 v[26:27], v[98:99], -v[72:73]
	v_add_f64 v[24:25], v[128:129], -v[130:131]
	;; [unrolled: 1-line block ×3, first 2 shown]
	v_fmac_f64_e32 v[20:21], s[16:17], v[22:23]
	v_fmac_f64_e32 v[76:77], s[12:13], v[26:27]
	v_add_f64 v[24:25], v[24:25], v[28:29]
	v_fmac_f64_e32 v[20:21], s[18:19], v[26:27]
	v_fmac_f64_e32 v[76:77], s[14:15], v[24:25]
	;; [unrolled: 1-line block ×3, first 2 shown]
	v_add_f64 v[24:25], v[128:129], v[74:75]
	v_fmac_f64_e32 v[12:13], -0.5, v[24:25]
	v_fma_f64 v[24:25], s[16:17], v[26:27], v[12:13]
	v_fmac_f64_e32 v[12:13], s[8:9], v[26:27]
	v_fmac_f64_e32 v[24:25], s[12:13], v[22:23]
	;; [unrolled: 1-line block ×3, first 2 shown]
	v_add_f64 v[22:23], v[14:15], v[96:97]
	v_add_f64 v[22:23], v[22:23], v[98:99]
	v_fmac_f64_e32 v[148:149], v[30:31], v[46:47]
	v_add_f64 v[28:29], v[130:131], -v[128:129]
	v_add_f64 v[30:31], v[132:133], -v[74:75]
	v_add_f64 v[22:23], v[22:23], v[72:73]
	v_add_f64 v[28:29], v[28:29], v[30:31]
	;; [unrolled: 1-line block ×4, first 2 shown]
	v_fmac_f64_e32 v[24:25], s[14:15], v[28:29]
	v_fmac_f64_e32 v[12:13], s[14:15], v[28:29]
	v_fma_f64 v[22:23], -0.5, v[22:23], v[14:15]
	v_add_f64 v[28:29], v[128:129], -v[74:75]
	v_fma_f64 v[78:79], s[16:17], v[28:29], v[22:23]
	v_add_f64 v[30:31], v[130:131], -v[132:133]
	v_add_f64 v[26:27], v[96:97], -v[98:99]
	;; [unrolled: 1-line block ×3, first 2 shown]
	v_fmac_f64_e32 v[22:23], s[8:9], v[28:29]
	v_fmac_f64_e32 v[78:79], s[18:19], v[30:31]
	v_add_f64 v[26:27], v[26:27], v[32:33]
	v_fmac_f64_e32 v[22:23], s[12:13], v[30:31]
	v_fmac_f64_e32 v[78:79], s[14:15], v[26:27]
	;; [unrolled: 1-line block ×3, first 2 shown]
	v_add_f64 v[26:27], v[96:97], v[68:69]
	v_fmac_f64_e32 v[14:15], -0.5, v[26:27]
	v_fma_f64 v[26:27], s[8:9], v[30:31], v[14:15]
	v_fmac_f64_e32 v[14:15], s[16:17], v[30:31]
	v_fmac_f64_e32 v[26:27], s[18:19], v[28:29]
	;; [unrolled: 1-line block ×3, first 2 shown]
	v_add_f64 v[28:29], v[8:9], v[70:71]
	v_add_f64 v[28:29], v[28:29], v[66:67]
	;; [unrolled: 1-line block ×3, first 2 shown]
	v_add_f64 v[32:33], v[98:99], -v[96:97]
	v_add_f64 v[34:35], v[72:73], -v[68:69]
	v_add_f64 v[36:37], v[28:29], v[58:59]
	v_add_f64 v[28:29], v[66:67], v[62:63]
	v_accvgpr_write_b32 a177, v41
	v_add_f64 v[32:33], v[32:33], v[34:35]
	v_fma_f64 v[28:29], -0.5, v[28:29], v[8:9]
	v_add_f64 v[30:31], v[64:65], -v[52:53]
	v_accvgpr_write_b32 a176, v40
	v_accvgpr_write_b32 a175, v39
	;; [unrolled: 1-line block ×3, first 2 shown]
	v_fmac_f64_e32 v[26:27], s[14:15], v[32:33]
	v_fmac_f64_e32 v[14:15], s[14:15], v[32:33]
	v_fma_f64 v[32:33], s[8:9], v[30:31], v[28:29]
	v_add_f64 v[34:35], v[60:61], -v[56:57]
	v_add_f64 v[38:39], v[70:71], -v[66:67]
	v_add_f64 v[40:41], v[58:59], -v[62:63]
	v_fmac_f64_e32 v[28:29], s[16:17], v[30:31]
	v_fmac_f64_e32 v[32:33], s[12:13], v[34:35]
	v_add_f64 v[38:39], v[38:39], v[40:41]
	v_fmac_f64_e32 v[28:29], s[18:19], v[34:35]
	v_fmac_f64_e32 v[32:33], s[14:15], v[38:39]
	;; [unrolled: 1-line block ×3, first 2 shown]
	v_add_f64 v[38:39], v[70:71], v[58:59]
	v_fmac_f64_e32 v[8:9], -0.5, v[38:39]
	v_fma_f64 v[40:41], s[16:17], v[34:35], v[8:9]
	v_fmac_f64_e32 v[8:9], s[8:9], v[34:35]
	v_accvgpr_write_b32 a181, v45
	v_fmac_f64_e32 v[40:41], s[12:13], v[30:31]
	v_fmac_f64_e32 v[8:9], s[18:19], v[30:31]
	v_add_f64 v[30:31], v[10:11], v[64:65]
	v_accvgpr_write_b32 a180, v44
	v_accvgpr_write_b32 a179, v43
	;; [unrolled: 1-line block ×3, first 2 shown]
	v_add_f64 v[38:39], v[66:67], -v[70:71]
	v_add_f64 v[42:43], v[62:63], -v[58:59]
	v_add_f64 v[30:31], v[30:31], v[60:61]
	v_add_f64 v[38:39], v[38:39], v[42:43]
	;; [unrolled: 1-line block ×3, first 2 shown]
	v_fmac_f64_e32 v[40:41], s[14:15], v[38:39]
	v_fmac_f64_e32 v[8:9], s[14:15], v[38:39]
	v_add_f64 v[38:39], v[30:31], v[52:53]
	v_add_f64 v[30:31], v[60:61], v[56:57]
	v_accvgpr_write_b32 a185, v49
	v_fma_f64 v[30:31], -0.5, v[30:31], v[10:11]
	v_add_f64 v[44:45], v[70:71], -v[58:59]
	v_accvgpr_write_b32 a184, v48
	v_accvgpr_write_b32 a183, v47
	;; [unrolled: 1-line block ×3, first 2 shown]
	v_fma_f64 v[34:35], s[16:17], v[44:45], v[30:31]
	v_add_f64 v[46:47], v[66:67], -v[62:63]
	v_add_f64 v[42:43], v[64:65], -v[60:61]
	;; [unrolled: 1-line block ×3, first 2 shown]
	v_fmac_f64_e32 v[30:31], s[8:9], v[44:45]
	v_fmac_f64_e32 v[34:35], s[18:19], v[46:47]
	v_add_f64 v[42:43], v[42:43], v[48:49]
	v_fmac_f64_e32 v[30:31], s[12:13], v[46:47]
	v_fmac_f64_e32 v[34:35], s[14:15], v[42:43]
	;; [unrolled: 1-line block ×3, first 2 shown]
	v_add_f64 v[42:43], v[64:65], v[52:53]
	v_fmac_f64_e32 v[10:11], -0.5, v[42:43]
	v_fma_f64 v[42:43], s[8:9], v[46:47], v[10:11]
	v_fmac_f64_e32 v[10:11], s[16:17], v[46:47]
	v_fmac_f64_e32 v[42:43], s[18:19], v[44:45]
	;; [unrolled: 1-line block ×3, first 2 shown]
	v_add_f64 v[44:45], v[4:5], v[214:215]
	v_add_f64 v[44:45], v[44:45], v[216:217]
	v_add_f64 v[48:49], v[60:61], -v[64:65]
	v_add_f64 v[52:53], v[56:57], -v[52:53]
	v_add_f64 v[44:45], v[44:45], v[218:219]
	v_add_f64 v[48:49], v[48:49], v[52:53]
	;; [unrolled: 1-line block ×4, first 2 shown]
	v_fma_f64 v[44:45], -0.5, v[44:45], v[4:5]
	v_add_f64 v[46:47], v[206:207], -v[212:213]
	v_fmac_f64_e32 v[42:43], s[14:15], v[48:49]
	v_fmac_f64_e32 v[10:11], s[14:15], v[48:49]
	v_fma_f64 v[48:49], s[8:9], v[46:47], v[44:45]
	v_add_f64 v[56:57], v[214:215], -v[216:217]
	v_add_f64 v[58:59], v[50:51], -v[218:219]
	v_fmac_f64_e32 v[44:45], s[16:17], v[46:47]
	v_fmac_f64_e32 v[48:49], s[12:13], v[54:55]
	v_add_f64 v[56:57], v[56:57], v[58:59]
	v_fmac_f64_e32 v[44:45], s[18:19], v[54:55]
	v_fmac_f64_e32 v[48:49], s[14:15], v[56:57]
	;; [unrolled: 1-line block ×3, first 2 shown]
	v_add_f64 v[56:57], v[214:215], v[50:51]
	v_fmac_f64_e32 v[4:5], -0.5, v[56:57]
	v_fma_f64 v[56:57], s[16:17], v[54:55], v[4:5]
	v_fmac_f64_e32 v[4:5], s[8:9], v[54:55]
	v_fmac_f64_e32 v[56:57], s[12:13], v[46:47]
	;; [unrolled: 1-line block ×3, first 2 shown]
	v_add_f64 v[46:47], v[6:7], v[206:207]
	v_add_f64 v[46:47], v[46:47], v[208:209]
	;; [unrolled: 1-line block ×3, first 2 shown]
	v_add_f64 v[58:59], v[216:217], -v[214:215]
	v_add_f64 v[60:61], v[218:219], -v[50:51]
	v_add_f64 v[54:55], v[46:47], v[212:213]
	v_add_f64 v[46:47], v[208:209], v[210:211]
	;; [unrolled: 1-line block ×3, first 2 shown]
	v_fma_f64 v[46:47], -0.5, v[46:47], v[6:7]
	v_add_f64 v[60:61], v[214:215], -v[50:51]
	v_fmac_f64_e32 v[56:57], s[14:15], v[58:59]
	v_fmac_f64_e32 v[4:5], s[14:15], v[58:59]
	v_fma_f64 v[50:51], s[16:17], v[60:61], v[46:47]
	v_add_f64 v[62:63], v[216:217], -v[218:219]
	v_add_f64 v[58:59], v[206:207], -v[208:209]
	v_add_f64 v[64:65], v[212:213], -v[210:211]
	v_fmac_f64_e32 v[46:47], s[8:9], v[60:61]
	v_fmac_f64_e32 v[50:51], s[18:19], v[62:63]
	v_add_f64 v[58:59], v[58:59], v[64:65]
	v_fmac_f64_e32 v[46:47], s[12:13], v[62:63]
	v_fmac_f64_e32 v[50:51], s[14:15], v[58:59]
	;; [unrolled: 1-line block ×3, first 2 shown]
	v_add_f64 v[58:59], v[206:207], v[212:213]
	v_fmac_f64_e32 v[6:7], -0.5, v[58:59]
	v_fma_f64 v[58:59], s[8:9], v[62:63], v[6:7]
	v_fmac_f64_e32 v[6:7], s[16:17], v[62:63]
	v_fmac_f64_e32 v[58:59], s[18:19], v[60:61]
	;; [unrolled: 1-line block ×3, first 2 shown]
	v_add_f64 v[60:61], v[0:1], v[152:153]
	v_add_f64 v[60:61], v[60:61], v[154:155]
	v_add_f64 v[60:61], v[60:61], v[158:159]
	v_add_f64 v[64:65], v[208:209], -v[206:207]
	v_add_f64 v[66:67], v[210:211], -v[212:213]
	v_add_f64 v[68:69], v[60:61], v[160:161]
	v_add_f64 v[60:61], v[154:155], v[158:159]
	;; [unrolled: 1-line block ×3, first 2 shown]
	v_fma_f64 v[60:61], -0.5, v[60:61], v[0:1]
	v_add_f64 v[62:63], v[146:147], -v[156:157]
	v_fmac_f64_e32 v[58:59], s[14:15], v[64:65]
	v_fmac_f64_e32 v[6:7], s[14:15], v[64:65]
	v_fma_f64 v[64:65], s[8:9], v[62:63], v[60:61]
	v_add_f64 v[66:67], v[148:149], -v[150:151]
	v_add_f64 v[70:71], v[152:153], -v[154:155]
	;; [unrolled: 1-line block ×3, first 2 shown]
	v_fmac_f64_e32 v[60:61], s[16:17], v[62:63]
	v_fmac_f64_e32 v[64:65], s[12:13], v[66:67]
	v_add_f64 v[70:71], v[70:71], v[72:73]
	v_fmac_f64_e32 v[60:61], s[18:19], v[66:67]
	v_fmac_f64_e32 v[64:65], s[14:15], v[70:71]
	;; [unrolled: 1-line block ×3, first 2 shown]
	v_add_f64 v[70:71], v[152:153], v[160:161]
	v_fmac_f64_e32 v[0:1], -0.5, v[70:71]
	v_fma_f64 v[72:73], s[16:17], v[66:67], v[0:1]
	v_fmac_f64_e32 v[0:1], s[8:9], v[66:67]
	v_fmac_f64_e32 v[72:73], s[12:13], v[62:63]
	;; [unrolled: 1-line block ×3, first 2 shown]
	v_add_f64 v[62:63], v[2:3], v[146:147]
	v_add_f64 v[70:71], v[154:155], -v[152:153]
	v_add_f64 v[74:75], v[158:159], -v[160:161]
	v_add_f64 v[62:63], v[62:63], v[148:149]
	v_add_f64 v[70:71], v[70:71], v[74:75]
	;; [unrolled: 1-line block ×3, first 2 shown]
	v_fmac_f64_e32 v[72:73], s[14:15], v[70:71]
	v_fmac_f64_e32 v[0:1], s[14:15], v[70:71]
	v_add_f64 v[70:71], v[62:63], v[156:157]
	v_add_f64 v[62:63], v[148:149], v[150:151]
	v_fma_f64 v[62:63], -0.5, v[62:63], v[2:3]
	v_add_f64 v[96:97], v[152:153], -v[160:161]
	v_fma_f64 v[66:67], s[16:17], v[96:97], v[62:63]
	v_add_f64 v[98:99], v[154:155], -v[158:159]
	v_add_f64 v[74:75], v[146:147], -v[148:149]
	v_add_f64 v[128:129], v[156:157], -v[150:151]
	v_fmac_f64_e32 v[62:63], s[8:9], v[96:97]
	v_fmac_f64_e32 v[66:67], s[18:19], v[98:99]
	v_add_f64 v[74:75], v[74:75], v[128:129]
	v_fmac_f64_e32 v[62:63], s[12:13], v[98:99]
	v_fmac_f64_e32 v[66:67], s[14:15], v[74:75]
	;; [unrolled: 1-line block ×3, first 2 shown]
	v_add_f64 v[74:75], v[146:147], v[156:157]
	v_fmac_f64_e32 v[2:3], -0.5, v[74:75]
	v_fma_f64 v[74:75], s[8:9], v[98:99], v[2:3]
	v_add_f64 v[128:129], v[148:149], -v[146:147]
	v_add_f64 v[130:131], v[150:151], -v[156:157]
	v_fmac_f64_e32 v[2:3], s[16:17], v[98:99]
	v_fmac_f64_e32 v[74:75], s[18:19], v[96:97]
	v_add_f64 v[128:129], v[128:129], v[130:131]
	v_fmac_f64_e32 v[2:3], s[12:13], v[96:97]
	v_fmac_f64_e32 v[74:75], s[14:15], v[128:129]
	;; [unrolled: 1-line block ×3, first 2 shown]
	v_lshl_add_u64 v[128:129], v[122:123], 0, s[20:21]
	v_add_co_u32_e64 v122, s[0:1], s22, v122
	ds_write_b128 v182, v[92:95]
	ds_write_b128 v182, v[88:91] offset:1040
	ds_write_b128 v182, v[84:87] offset:2080
	;; [unrolled: 1-line block ×9, first 2 shown]
	v_lshl_add_u32 v200, v101, 4, v196
	v_lshl_add_u32 v201, v117, 4, v196
	;; [unrolled: 1-line block ×3, first 2 shown]
	v_addc_co_u32_e64 v123, s[0:1], 0, v123, s[0:1]
	ds_write_b128 v200, v[36:39] offset:10400
	ds_write_b128 v200, v[32:35] offset:11440
	;; [unrolled: 1-line block ×15, first 2 shown]
	s_waitcnt lgkmcnt(0)
	s_barrier
	ds_read_b128 v[76:79], v182
	ds_read_b128 v[96:99], v182 offset:5200
	ds_read_b128 v[92:95], v182 offset:10400
	;; [unrolled: 1-line block ×24, first 2 shown]
	global_load_dwordx4 v[212:215], v[122:123], off offset:896
	global_load_dwordx4 v[204:207], v[128:129], off offset:48
	;; [unrolled: 1-line block ×4, first 2 shown]
	s_waitcnt vmcnt(3) lgkmcnt(14)
	v_mul_f64 v[122:123], v[98:99], v[214:215]
	v_fma_f64 v[130:131], v[96:97], v[212:213], -v[122:123]
	v_mul_f64 v[122:123], v[96:97], v[214:215]
	s_waitcnt vmcnt(0)
	v_mul_f64 v[96:97], v[94:95], v[136:137]
	v_fma_f64 v[132:133], v[92:93], v[134:135], -v[96:97]
	v_mul_f64 v[92:93], v[92:93], v[136:137]
	v_fmac_f64_e32 v[92:93], v[94:95], v[134:135]
	v_mul_f64 v[94:95], v[90:91], v[210:211]
	v_fma_f64 v[94:95], v[88:89], v[208:209], -v[94:95]
	v_mul_f64 v[88:89], v[88:89], v[210:211]
	v_fmac_f64_e32 v[88:89], v[90:91], v[208:209]
	;; [unrolled: 4-line block ×3, first 2 shown]
	v_lshl_add_u64 v[86:87], s[2:3], 0, v[102:103]
	v_lshl_add_u64 v[96:97], v[86:87], 0, s[20:21]
	v_add_co_u32_e64 v86, s[0:1], s22, v86
	v_lshlrev_b32_e32 v102, 6, v120
	s_nop 0
	v_addc_co_u32_e64 v87, s[0:1], 0, v87, s[0:1]
	global_load_dwordx4 v[224:227], v[86:87], off offset:896
	global_load_dwordx4 v[216:219], v[96:97], off offset:48
	;; [unrolled: 1-line block ×4, first 2 shown]
	v_accvgpr_write_b32 a207, v137
	v_fmac_f64_e32 v[122:123], v[98:99], v[212:213]
	v_accvgpr_write_b32 a206, v136
	v_accvgpr_write_b32 a205, v135
	;; [unrolled: 1-line block ×3, first 2 shown]
	s_waitcnt vmcnt(3)
	v_mul_f64 v[86:87], v[82:83], v[226:227]
	v_fma_f64 v[86:87], v[80:81], v[224:225], -v[86:87]
	v_mul_f64 v[80:81], v[80:81], v[226:227]
	v_fmac_f64_e32 v[80:81], v[82:83], v[224:225]
	s_waitcnt vmcnt(0)
	v_mul_f64 v[82:83], v[70:71], v[230:231]
	v_fma_f64 v[82:83], v[68:69], v[228:229], -v[82:83]
	v_mul_f64 v[68:69], v[68:69], v[230:231]
	v_fmac_f64_e32 v[68:69], v[70:71], v[228:229]
	v_mul_f64 v[70:71], v[66:67], v[222:223]
	v_fma_f64 v[70:71], v[64:65], v[220:221], -v[70:71]
	v_mul_f64 v[64:65], v[64:65], v[222:223]
	v_fmac_f64_e32 v[64:65], v[66:67], v[220:221]
	;; [unrolled: 4-line block ×3, first 2 shown]
	v_lshl_add_u64 v[62:63], s[2:3], 0, v[102:103]
	v_lshl_add_u64 v[96:97], v[62:63], 0, s[20:21]
	v_add_co_u32_e64 v62, s[0:1], s22, v62
	v_lshlrev_b32_e32 v102, 6, v118
	s_nop 0
	v_addc_co_u32_e64 v63, s[0:1], 0, v63, s[0:1]
	global_load_dwordx4 v[244:247], v[62:63], off offset:896
	global_load_dwordx4 v[232:235], v[96:97], off offset:48
	;; [unrolled: 1-line block ×4, first 2 shown]
	s_waitcnt vmcnt(3) lgkmcnt(13)
	v_mul_f64 v[62:63], v[58:59], v[246:247]
	v_fma_f64 v[62:63], v[56:57], v[244:245], -v[62:63]
	v_mul_f64 v[56:57], v[56:57], v[246:247]
	v_fmac_f64_e32 v[56:57], v[58:59], v[244:245]
	s_waitcnt vmcnt(0) lgkmcnt(12)
	v_mul_f64 v[58:59], v[54:55], v[242:243]
	v_fma_f64 v[58:59], v[52:53], v[240:241], -v[58:59]
	v_mul_f64 v[52:53], v[52:53], v[242:243]
	v_fmac_f64_e32 v[52:53], v[54:55], v[240:241]
	s_waitcnt lgkmcnt(11)
	v_mul_f64 v[54:55], v[6:7], v[238:239]
	v_fma_f64 v[146:147], v[4:5], v[236:237], -v[54:55]
	v_mul_f64 v[54:55], v[4:5], v[238:239]
	s_waitcnt lgkmcnt(10)
	v_mul_f64 v[4:5], v[2:3], v[234:235]
	v_fma_f64 v[150:151], v[0:1], v[232:233], -v[4:5]
	v_mul_f64 v[142:143], v[0:1], v[234:235]
	v_lshl_add_u64 v[0:1], s[2:3], 0, v[102:103]
	v_lshl_add_u64 v[4:5], v[0:1], 0, s[20:21]
	v_add_co_u32_e64 v0, s[0:1], s22, v0
	v_fmac_f64_e32 v[54:55], v[6:7], v[236:237]
	s_nop 0
	v_addc_co_u32_e64 v1, s[0:1], 0, v1, s[0:1]
	v_fmac_f64_e32 v[142:143], v[2:3], v[232:233]
	global_load_dwordx4 v[0:3], v[0:1], off offset:896
	s_nop 0
	global_load_dwordx4 v[248:251], v[4:5], off offset:48
	global_load_dwordx4 v[252:255], v[4:5], off offset:32
	s_nop 0
	global_load_dwordx4 v[4:7], v[4:5], off offset:16
	v_lshlrev_b32_e32 v102, 6, v116
	s_waitcnt vmcnt(3) lgkmcnt(8)
	v_mul_f64 v[96:97], v[22:23], v[2:3]
	v_fma_f64 v[154:155], v[20:21], v[0:1], -v[96:97]
	v_mul_f64 v[148:149], v[20:21], v[2:3]
	s_waitcnt vmcnt(0) lgkmcnt(7)
	v_mul_f64 v[20:21], v[18:19], v[6:7]
	v_fma_f64 v[156:157], v[16:17], v[4:5], -v[20:21]
	v_mul_f64 v[152:153], v[16:17], v[6:7]
	s_waitcnt lgkmcnt(6)
	v_mul_f64 v[16:17], v[14:15], v[254:255]
	v_fma_f64 v[162:163], v[12:13], v[252:253], -v[16:17]
	v_mul_f64 v[158:159], v[12:13], v[254:255]
	s_waitcnt lgkmcnt(5)
	v_mul_f64 v[12:13], v[10:11], v[250:251]
	v_fma_f64 v[166:167], v[8:9], v[248:249], -v[12:13]
	v_mul_f64 v[160:161], v[8:9], v[250:251]
	v_lshl_add_u64 v[8:9], s[2:3], 0, v[102:103]
	v_lshl_add_u64 v[16:17], v[8:9], 0, s[20:21]
	v_add_co_u32_e64 v8, s[0:1], s22, v8
	v_fmac_f64_e32 v[148:149], v[22:23], v[0:1]
	s_nop 0
	v_addc_co_u32_e64 v9, s[0:1], 0, v9, s[0:1]
	v_fmac_f64_e32 v[152:153], v[18:19], v[4:5]
	v_fmac_f64_e32 v[158:159], v[14:15], v[252:253]
	;; [unrolled: 1-line block ×3, first 2 shown]
	global_load_dwordx4 v[20:23], v[8:9], off offset:896
	s_nop 0
	global_load_dwordx4 v[8:11], v[16:17], off offset:48
	global_load_dwordx4 v[12:15], v[16:17], off offset:32
	s_nop 0
	global_load_dwordx4 v[16:19], v[16:17], off offset:16
	s_mov_b64 s[0:1], 0x6590
	s_waitcnt vmcnt(3) lgkmcnt(3)
	v_mul_f64 v[96:97], v[50:51], v[22:23]
	v_fma_f64 v[170:171], v[48:49], v[20:21], -v[96:97]
	v_mul_f64 v[164:165], v[48:49], v[22:23]
	s_waitcnt vmcnt(0) lgkmcnt(2)
	v_mul_f64 v[48:49], v[46:47], v[18:19]
	v_fma_f64 v[174:175], v[44:45], v[16:17], -v[48:49]
	v_mul_f64 v[168:169], v[44:45], v[18:19]
	s_waitcnt lgkmcnt(1)
	v_mul_f64 v[44:45], v[42:43], v[14:15]
	v_fma_f64 v[178:179], v[40:41], v[12:13], -v[44:45]
	v_mul_f64 v[172:173], v[40:41], v[14:15]
	s_waitcnt lgkmcnt(0)
	v_mul_f64 v[40:41], v[38:39], v[10:11]
	v_fma_f64 v[180:181], v[36:37], v[8:9], -v[40:41]
	v_mul_f64 v[176:177], v[36:37], v[10:11]
	v_add_f64 v[36:37], v[76:77], v[130:131]
	v_add_f64 v[36:37], v[36:37], v[132:133]
	v_add_f64 v[36:37], v[36:37], v[94:95]
	v_add_f64 v[136:137], v[36:37], v[90:91]
	v_add_f64 v[36:37], v[132:133], v[94:95]
	v_fma_f64 v[96:97], -0.5, v[36:37], v[76:77]
	v_add_f64 v[36:37], v[122:123], -v[84:85]
	v_fmac_f64_e32 v[172:173], v[42:43], v[12:13]
	v_fmac_f64_e32 v[176:177], v[38:39], v[8:9]
	v_fma_f64 v[128:129], s[8:9], v[36:37], v[96:97]
	v_add_f64 v[38:39], v[92:93], -v[88:89]
	v_add_f64 v[40:41], v[130:131], -v[132:133]
	v_add_f64 v[42:43], v[90:91], -v[94:95]
	v_fmac_f64_e32 v[96:97], s[16:17], v[36:37]
	v_fmac_f64_e32 v[128:129], s[12:13], v[38:39]
	v_add_f64 v[40:41], v[40:41], v[42:43]
	v_fmac_f64_e32 v[96:97], s[18:19], v[38:39]
	v_fmac_f64_e32 v[128:129], s[14:15], v[40:41]
	v_fmac_f64_e32 v[96:97], s[14:15], v[40:41]
	v_add_f64 v[40:41], v[130:131], v[90:91]
	v_fmac_f64_e32 v[76:77], -0.5, v[40:41]
	v_fma_f64 v[116:117], s[16:17], v[38:39], v[76:77]
	v_fmac_f64_e32 v[76:77], s[8:9], v[38:39]
	v_fmac_f64_e32 v[116:117], s[12:13], v[36:37]
	v_fmac_f64_e32 v[76:77], s[18:19], v[36:37]
	v_add_f64 v[36:37], v[78:79], v[122:123]
	v_add_f64 v[36:37], v[36:37], v[92:93]
	v_add_f64 v[36:37], v[36:37], v[88:89]
	v_add_f64 v[40:41], v[132:133], -v[130:131]
	v_add_f64 v[42:43], v[94:95], -v[90:91]
	v_add_f64 v[138:139], v[36:37], v[84:85]
	v_add_f64 v[36:37], v[92:93], v[88:89]
	v_add_f64 v[40:41], v[40:41], v[42:43]
	v_fma_f64 v[98:99], -0.5, v[36:37], v[78:79]
	v_add_f64 v[36:37], v[130:131], -v[90:91]
	v_fmac_f64_e32 v[116:117], s[14:15], v[40:41]
	v_fmac_f64_e32 v[76:77], s[14:15], v[40:41]
	v_fma_f64 v[130:131], s[16:17], v[36:37], v[98:99]
	v_add_f64 v[38:39], v[132:133], -v[94:95]
	v_add_f64 v[40:41], v[122:123], -v[92:93]
	v_add_f64 v[42:43], v[84:85], -v[88:89]
	v_fmac_f64_e32 v[98:99], s[8:9], v[36:37]
	v_fmac_f64_e32 v[130:131], s[18:19], v[38:39]
	v_add_f64 v[40:41], v[40:41], v[42:43]
	v_fmac_f64_e32 v[98:99], s[12:13], v[38:39]
	v_fmac_f64_e32 v[130:131], s[14:15], v[40:41]
	v_fmac_f64_e32 v[98:99], s[14:15], v[40:41]
	v_add_f64 v[40:41], v[122:123], v[84:85]
	v_fmac_f64_e32 v[78:79], -0.5, v[40:41]
	v_fma_f64 v[118:119], s[8:9], v[38:39], v[78:79]
	v_fmac_f64_e32 v[78:79], s[16:17], v[38:39]
	v_fmac_f64_e32 v[118:119], s[18:19], v[36:37]
	v_fmac_f64_e32 v[78:79], s[12:13], v[36:37]
	v_add_f64 v[36:37], v[72:73], v[86:87]
	v_add_f64 v[36:37], v[36:37], v[82:83]
	v_add_f64 v[36:37], v[36:37], v[70:71]
	v_add_f64 v[40:41], v[92:93], -v[122:123]
	v_add_f64 v[42:43], v[88:89], -v[84:85]
	v_add_f64 v[132:133], v[36:37], v[66:67]
	v_add_f64 v[36:37], v[82:83], v[70:71]
	v_add_f64 v[40:41], v[40:41], v[42:43]
	;; [unrolled: 28-line block ×5, first 2 shown]
	v_fma_f64 v[38:39], -0.5, v[38:39], v[26:27]
	v_add_f64 v[40:41], v[62:63], -v[150:151]
	v_fmac_f64_e32 v[168:169], v[46:47], v[16:17]
	v_fmac_f64_e32 v[80:81], s[14:15], v[42:43]
	;; [unrolled: 1-line block ×3, first 2 shown]
	v_fma_f64 v[86:87], s[16:17], v[40:41], v[38:39]
	v_add_f64 v[42:43], v[58:59], -v[146:147]
	v_add_f64 v[44:45], v[56:57], -v[52:53]
	;; [unrolled: 1-line block ×3, first 2 shown]
	v_fmac_f64_e32 v[38:39], s[8:9], v[40:41]
	v_fmac_f64_e32 v[86:87], s[18:19], v[42:43]
	v_add_f64 v[44:45], v[44:45], v[46:47]
	v_fmac_f64_e32 v[38:39], s[12:13], v[42:43]
	v_fmac_f64_e32 v[86:87], s[14:15], v[44:45]
	v_fmac_f64_e32 v[38:39], s[14:15], v[44:45]
	v_add_f64 v[44:45], v[56:57], v[142:143]
	v_fmac_f64_e32 v[26:27], -0.5, v[44:45]
	v_fma_f64 v[82:83], s[8:9], v[42:43], v[26:27]
	v_add_f64 v[44:45], v[52:53], -v[56:57]
	v_add_f64 v[46:47], v[54:55], -v[142:143]
	v_fmac_f64_e32 v[26:27], s[16:17], v[42:43]
	v_add_f64 v[42:43], v[156:157], v[162:163]
	v_fmac_f64_e32 v[82:83], s[18:19], v[40:41]
	v_add_f64 v[44:45], v[44:45], v[46:47]
	v_fmac_f64_e32 v[26:27], s[12:13], v[40:41]
	v_fma_f64 v[52:53], -0.5, v[42:43], v[28:29]
	v_add_f64 v[42:43], v[148:149], -v[160:161]
	v_fmac_f64_e32 v[164:165], v[50:51], v[20:21]
	v_fmac_f64_e32 v[82:83], s[14:15], v[44:45]
	;; [unrolled: 1-line block ×3, first 2 shown]
	v_fma_f64 v[44:45], s[8:9], v[42:43], v[52:53]
	v_add_f64 v[46:47], v[152:153], -v[158:159]
	v_add_f64 v[48:49], v[154:155], -v[156:157]
	v_add_f64 v[50:51], v[166:167], -v[162:163]
	v_fmac_f64_e32 v[52:53], s[16:17], v[42:43]
	v_fmac_f64_e32 v[44:45], s[12:13], v[46:47]
	v_add_f64 v[48:49], v[48:49], v[50:51]
	v_fmac_f64_e32 v[52:53], s[18:19], v[46:47]
	v_fmac_f64_e32 v[44:45], s[14:15], v[48:49]
	v_fmac_f64_e32 v[52:53], s[14:15], v[48:49]
	v_add_f64 v[48:49], v[154:155], v[166:167]
	v_add_f64 v[40:41], v[28:29], v[154:155]
	v_fmac_f64_e32 v[28:29], -0.5, v[48:49]
	v_fma_f64 v[48:49], s[16:17], v[46:47], v[28:29]
	v_add_f64 v[50:51], v[156:157], -v[154:155]
	v_add_f64 v[54:55], v[162:163], -v[166:167]
	v_fmac_f64_e32 v[28:29], s[8:9], v[46:47]
	v_add_f64 v[46:47], v[152:153], v[158:159]
	v_fmac_f64_e32 v[48:49], s[12:13], v[42:43]
	v_add_f64 v[50:51], v[50:51], v[54:55]
	v_fmac_f64_e32 v[28:29], s[18:19], v[42:43]
	v_fma_f64 v[54:55], -0.5, v[46:47], v[30:31]
	v_add_f64 v[56:57], v[154:155], -v[166:167]
	v_fmac_f64_e32 v[48:49], s[14:15], v[50:51]
	v_fmac_f64_e32 v[28:29], s[14:15], v[50:51]
	v_fma_f64 v[46:47], s[16:17], v[56:57], v[54:55]
	v_add_f64 v[58:59], v[156:157], -v[162:163]
	v_add_f64 v[50:51], v[148:149], -v[152:153]
	v_add_f64 v[60:61], v[160:161], -v[158:159]
	v_fmac_f64_e32 v[54:55], s[8:9], v[56:57]
	v_fmac_f64_e32 v[46:47], s[18:19], v[58:59]
	v_add_f64 v[50:51], v[50:51], v[60:61]
	v_fmac_f64_e32 v[54:55], s[12:13], v[58:59]
	v_fmac_f64_e32 v[46:47], s[14:15], v[50:51]
	v_fmac_f64_e32 v[54:55], s[14:15], v[50:51]
	v_add_f64 v[50:51], v[148:149], v[160:161]
	v_add_f64 v[42:43], v[30:31], v[148:149]
	v_fmac_f64_e32 v[30:31], -0.5, v[50:51]
	v_fma_f64 v[50:51], s[8:9], v[58:59], v[30:31]
	v_add_f64 v[60:61], v[152:153], -v[148:149]
	v_add_f64 v[62:63], v[158:159], -v[160:161]
	v_fmac_f64_e32 v[30:31], s[16:17], v[58:59]
	v_add_f64 v[58:59], v[174:175], v[178:179]
	v_fmac_f64_e32 v[50:51], s[18:19], v[56:57]
	v_add_f64 v[60:61], v[60:61], v[62:63]
	v_fmac_f64_e32 v[30:31], s[12:13], v[56:57]
	v_fma_f64 v[68:69], -0.5, v[58:59], v[32:33]
	v_add_f64 v[58:59], v[164:165], -v[176:177]
	v_fmac_f64_e32 v[50:51], s[14:15], v[60:61]
	v_fmac_f64_e32 v[30:31], s[14:15], v[60:61]
	;; [unrolled: 25-line block ×3, first 2 shown]
	v_fma_f64 v[62:63], s[16:17], v[142:143], v[70:71]
	v_add_f64 v[146:147], v[174:175], -v[178:179]
	v_add_f64 v[66:67], v[164:165], -v[168:169]
	v_add_f64 v[148:149], v[176:177], -v[172:173]
	v_fmac_f64_e32 v[70:71], s[8:9], v[142:143]
	v_fmac_f64_e32 v[62:63], s[18:19], v[146:147]
	v_add_f64 v[66:67], v[66:67], v[148:149]
	v_fmac_f64_e32 v[70:71], s[12:13], v[146:147]
	v_fmac_f64_e32 v[62:63], s[14:15], v[66:67]
	;; [unrolled: 1-line block ×3, first 2 shown]
	v_add_f64 v[66:67], v[164:165], v[176:177]
	v_add_f64 v[40:41], v[40:41], v[156:157]
	;; [unrolled: 1-line block ×3, first 2 shown]
	v_fmac_f64_e32 v[34:35], -0.5, v[66:67]
	v_add_f64 v[40:41], v[40:41], v[162:163]
	v_add_f64 v[42:43], v[42:43], v[152:153]
	;; [unrolled: 1-line block ×4, first 2 shown]
	v_fma_f64 v[66:67], s[8:9], v[146:147], v[34:35]
	v_add_f64 v[148:149], v[168:169], -v[164:165]
	v_add_f64 v[150:151], v[172:173], -v[176:177]
	v_fmac_f64_e32 v[34:35], s[16:17], v[146:147]
	v_add_f64 v[40:41], v[40:41], v[166:167]
	v_add_f64 v[42:43], v[42:43], v[158:159]
	;; [unrolled: 1-line block ×4, first 2 shown]
	v_fmac_f64_e32 v[66:67], s[18:19], v[142:143]
	v_add_f64 v[148:149], v[148:149], v[150:151]
	v_fmac_f64_e32 v[34:35], s[12:13], v[142:143]
	v_lshl_add_u32 v166, v194, 4, v196
	s_movk_i32 s8, 0x6000
	v_add_f64 v[42:43], v[42:43], v[160:161]
	v_add_f64 v[56:57], v[56:57], v[180:181]
	;; [unrolled: 1-line block ×3, first 2 shown]
	v_fmac_f64_e32 v[66:67], s[14:15], v[148:149]
	v_fmac_f64_e32 v[34:35], s[14:15], v[148:149]
	ds_write_b128 v182, v[136:139]
	ds_write_b128 v166, v[128:131] offset:5200
	ds_write_b128 v166, v[116:119] offset:10400
	;; [unrolled: 1-line block ×24, first 2 shown]
	v_lshl_add_u64 v[76:77], v[140:141], 0, s[0:1]
	v_add_co_u32_e64 v78, s[0:1], s8, v140
	s_waitcnt lgkmcnt(0)
	s_nop 0
	v_addc_co_u32_e64 v79, s[0:1], 0, v141, s[0:1]
	s_barrier
	global_load_dwordx4 v[78:81], v[78:79], off offset:1424
	ds_read_b128 v[72:75], v182
	s_movk_i32 s0, 0x7000
	s_waitcnt vmcnt(0) lgkmcnt(0)
	v_mul_f64 v[82:83], v[74:75], v[80:81]
	v_mul_f64 v[84:85], v[72:73], v[80:81]
	v_fma_f64 v[82:83], v[72:73], v[78:79], -v[82:83]
	v_fmac_f64_e32 v[84:85], v[74:75], v[78:79]
	global_load_dwordx4 v[78:81], v[76:77], off offset:2000
	ds_read_b128 v[72:75], v182 offset:2000
	ds_write_b128 v182, v[82:85]
	s_waitcnt vmcnt(0) lgkmcnt(1)
	v_mul_f64 v[82:83], v[74:75], v[80:81]
	v_mul_f64 v[84:85], v[72:73], v[80:81]
	v_fma_f64 v[82:83], v[72:73], v[78:79], -v[82:83]
	v_fmac_f64_e32 v[84:85], v[74:75], v[78:79]
	global_load_dwordx4 v[78:81], v[76:77], off offset:4000
	ds_read_b128 v[72:75], v182 offset:4000
	ds_write_b128 v182, v[82:85] offset:2000
	s_waitcnt vmcnt(0) lgkmcnt(1)
	v_mul_f64 v[82:83], v[74:75], v[80:81]
	v_mul_f64 v[84:85], v[72:73], v[80:81]
	v_fma_f64 v[82:83], v[72:73], v[78:79], -v[82:83]
	v_fmac_f64_e32 v[84:85], v[74:75], v[78:79]
	v_add_co_u32_e64 v78, s[0:1], s0, v140
	ds_read_b128 v[72:75], v182 offset:6000
	s_nop 0
	v_addc_co_u32_e64 v79, s[0:1], 0, v141, s[0:1]
	global_load_dwordx4 v[78:81], v[78:79], off offset:3328
	s_mov_b32 s0, 0x8000
	v_add_co_u32_e64 v86, s[0:1], s0, v140
	ds_write_b128 v182, v[82:85] offset:4000
	s_nop 0
	v_addc_co_u32_e64 v87, s[0:1], 0, v141, s[0:1]
	s_mov_b32 s0, 0x9000
	s_waitcnt vmcnt(0) lgkmcnt(1)
	v_mul_f64 v[82:83], v[74:75], v[80:81]
	v_mul_f64 v[84:85], v[72:73], v[80:81]
	v_fma_f64 v[82:83], v[72:73], v[78:79], -v[82:83]
	v_fmac_f64_e32 v[84:85], v[74:75], v[78:79]
	global_load_dwordx4 v[78:81], v[86:87], off offset:1232
	ds_read_b128 v[72:75], v182 offset:8000
	ds_write_b128 v182, v[82:85] offset:6000
	s_waitcnt vmcnt(0) lgkmcnt(1)
	v_mul_f64 v[82:83], v[74:75], v[80:81]
	v_mul_f64 v[84:85], v[72:73], v[80:81]
	v_fma_f64 v[82:83], v[72:73], v[78:79], -v[82:83]
	v_fmac_f64_e32 v[84:85], v[74:75], v[78:79]
	global_load_dwordx4 v[78:81], v[86:87], off offset:3232
	ds_read_b128 v[72:75], v182 offset:10000
	v_add_co_u32_e64 v86, s[0:1], s0, v140
	ds_write_b128 v182, v[82:85] offset:8000
	s_nop 0
	v_addc_co_u32_e64 v87, s[0:1], 0, v141, s[0:1]
	s_mov_b32 s0, 0xa000
	s_waitcnt vmcnt(0) lgkmcnt(1)
	v_mul_f64 v[82:83], v[74:75], v[80:81]
	v_mul_f64 v[84:85], v[72:73], v[80:81]
	v_fma_f64 v[82:83], v[72:73], v[78:79], -v[82:83]
	v_fmac_f64_e32 v[84:85], v[74:75], v[78:79]
	global_load_dwordx4 v[78:81], v[86:87], off offset:1136
	ds_read_b128 v[72:75], v182 offset:12000
	ds_write_b128 v182, v[82:85] offset:10000
	s_waitcnt vmcnt(0) lgkmcnt(1)
	v_mul_f64 v[82:83], v[74:75], v[80:81]
	v_mul_f64 v[84:85], v[72:73], v[80:81]
	v_fma_f64 v[82:83], v[72:73], v[78:79], -v[82:83]
	v_fmac_f64_e32 v[84:85], v[74:75], v[78:79]
	global_load_dwordx4 v[78:81], v[86:87], off offset:3136
	ds_read_b128 v[72:75], v182 offset:14000
	;; [unrolled: 20-line block ×4, first 2 shown]
	ds_write_b128 v182, v[82:85] offset:20000
	s_waitcnt vmcnt(0) lgkmcnt(1)
	v_mul_f64 v[82:83], v[74:75], v[80:81]
	v_mul_f64 v[84:85], v[72:73], v[80:81]
	v_fma_f64 v[82:83], v[72:73], v[78:79], -v[82:83]
	v_fmac_f64_e32 v[84:85], v[74:75], v[78:79]
	v_add_co_u32_e64 v78, s[0:1], s0, v140
	ds_read_b128 v[72:75], v182 offset:24000
	s_nop 0
	v_addc_co_u32_e64 v79, s[0:1], 0, v141, s[0:1]
	global_load_dwordx4 v[78:81], v[78:79], off offset:848
	ds_write_b128 v182, v[82:85] offset:22000
	s_waitcnt vmcnt(0) lgkmcnt(1)
	v_mul_f64 v[82:83], v[74:75], v[80:81]
	v_mul_f64 v[84:85], v[72:73], v[80:81]
	v_fma_f64 v[82:83], v[72:73], v[78:79], -v[82:83]
	v_fmac_f64_e32 v[84:85], v[74:75], v[78:79]
	ds_write_b128 v182, v[82:85] offset:24000
	s_and_saveexec_b64 s[2:3], vcc
	s_cbranch_execz .LBB0_9
; %bb.8:
	global_load_dwordx4 v[78:81], v[76:77], off offset:1040
	ds_read_b128 v[72:75], v166 offset:1040
	v_add_co_u32_e64 v86, s[0:1], s22, v76
	s_waitcnt vmcnt(0) lgkmcnt(0)
	v_mul_f64 v[82:83], v[74:75], v[80:81]
	v_mul_f64 v[84:85], v[72:73], v[80:81]
	v_fma_f64 v[82:83], v[72:73], v[78:79], -v[82:83]
	v_fmac_f64_e32 v[84:85], v[74:75], v[78:79]
	global_load_dwordx4 v[78:81], v[76:77], off offset:3040
	ds_read_b128 v[72:75], v166 offset:3040
	ds_write_b128 v166, v[82:85] offset:1040
	v_addc_co_u32_e64 v87, s[0:1], 0, v77, s[0:1]
	s_movk_i32 s0, 0x2000
	s_waitcnt vmcnt(0) lgkmcnt(1)
	v_mul_f64 v[82:83], v[74:75], v[80:81]
	v_mul_f64 v[84:85], v[72:73], v[80:81]
	v_fma_f64 v[82:83], v[72:73], v[78:79], -v[82:83]
	v_fmac_f64_e32 v[84:85], v[74:75], v[78:79]
	global_load_dwordx4 v[78:81], v[86:87], off offset:944
	ds_read_b128 v[72:75], v166 offset:5040
	ds_write_b128 v166, v[82:85] offset:3040
	s_waitcnt vmcnt(0) lgkmcnt(1)
	v_mul_f64 v[82:83], v[74:75], v[80:81]
	v_mul_f64 v[84:85], v[72:73], v[80:81]
	v_fma_f64 v[82:83], v[72:73], v[78:79], -v[82:83]
	v_fmac_f64_e32 v[84:85], v[74:75], v[78:79]
	global_load_dwordx4 v[78:81], v[86:87], off offset:2944
	ds_read_b128 v[72:75], v166 offset:7040
	v_add_co_u32_e64 v86, s[0:1], s0, v76
	ds_write_b128 v166, v[82:85] offset:5040
	s_nop 0
	v_addc_co_u32_e64 v87, s[0:1], 0, v77, s[0:1]
	s_movk_i32 s0, 0x3000
	s_waitcnt vmcnt(0) lgkmcnt(1)
	v_mul_f64 v[82:83], v[74:75], v[80:81]
	v_mul_f64 v[84:85], v[72:73], v[80:81]
	v_fma_f64 v[82:83], v[72:73], v[78:79], -v[82:83]
	v_fmac_f64_e32 v[84:85], v[74:75], v[78:79]
	global_load_dwordx4 v[78:81], v[86:87], off offset:848
	ds_read_b128 v[72:75], v166 offset:9040
	ds_write_b128 v166, v[82:85] offset:7040
	s_waitcnt vmcnt(0) lgkmcnt(1)
	v_mul_f64 v[82:83], v[74:75], v[80:81]
	v_mul_f64 v[84:85], v[72:73], v[80:81]
	v_fma_f64 v[82:83], v[72:73], v[78:79], -v[82:83]
	v_fmac_f64_e32 v[84:85], v[74:75], v[78:79]
	global_load_dwordx4 v[78:81], v[86:87], off offset:2848
	ds_read_b128 v[72:75], v166 offset:11040
	v_add_co_u32_e64 v86, s[0:1], s0, v76
	ds_write_b128 v166, v[82:85] offset:9040
	s_nop 0
	;; [unrolled: 20-line block ×4, first 2 shown]
	v_addc_co_u32_e64 v87, s[0:1], 0, v77, s[0:1]
	v_add_co_u32_e64 v76, s[0:1], s8, v76
	s_waitcnt vmcnt(0) lgkmcnt(1)
	v_mul_f64 v[82:83], v[74:75], v[80:81]
	v_mul_f64 v[84:85], v[72:73], v[80:81]
	v_fma_f64 v[82:83], v[72:73], v[78:79], -v[82:83]
	v_fmac_f64_e32 v[84:85], v[74:75], v[78:79]
	global_load_dwordx4 v[78:81], v[86:87], off offset:560
	ds_read_b128 v[72:75], v166 offset:21040
	ds_write_b128 v166, v[82:85] offset:19040
	v_addc_co_u32_e64 v77, s[0:1], 0, v77, s[0:1]
	s_waitcnt vmcnt(0) lgkmcnt(1)
	v_mul_f64 v[82:83], v[74:75], v[80:81]
	v_mul_f64 v[84:85], v[72:73], v[80:81]
	v_fma_f64 v[82:83], v[72:73], v[78:79], -v[82:83]
	v_fmac_f64_e32 v[84:85], v[74:75], v[78:79]
	global_load_dwordx4 v[78:81], v[86:87], off offset:2560
	ds_read_b128 v[72:75], v166 offset:23040
	ds_write_b128 v166, v[82:85] offset:21040
	s_waitcnt vmcnt(0) lgkmcnt(1)
	v_mul_f64 v[82:83], v[74:75], v[80:81]
	v_mul_f64 v[84:85], v[72:73], v[80:81]
	v_fma_f64 v[82:83], v[72:73], v[78:79], -v[82:83]
	v_fmac_f64_e32 v[84:85], v[74:75], v[78:79]
	global_load_dwordx4 v[76:79], v[76:77], off offset:464
	ds_read_b128 v[72:75], v166 offset:25040
	ds_write_b128 v166, v[82:85] offset:23040
	s_waitcnt vmcnt(0) lgkmcnt(1)
	v_mul_f64 v[80:81], v[74:75], v[78:79]
	v_mul_f64 v[82:83], v[72:73], v[78:79]
	v_fma_f64 v[80:81], v[72:73], v[76:77], -v[80:81]
	v_fmac_f64_e32 v[82:83], v[74:75], v[76:77]
	ds_write_b128 v166, v[80:83] offset:25040
.LBB0_9:
	s_or_b64 exec, exec, s[2:3]
	s_waitcnt lgkmcnt(0)
	s_barrier
	ds_read_b128 v[128:131], v182
	ds_read_b128 v[136:139], v182 offset:2000
	ds_read_b128 v[120:123], v182 offset:4000
	;; [unrolled: 1-line block ×12, first 2 shown]
	s_and_saveexec_b64 s[0:1], vcc
	s_cbranch_execz .LBB0_11
; %bb.10:
	ds_read_b128 v[24:27], v166 offset:1040
	ds_read_b128 v[36:39], v166 offset:3040
	;; [unrolled: 1-line block ×13, first 2 shown]
.LBB0_11:
	s_or_b64 exec, exec, s[0:1]
	v_add_u32_e32 v116, 0x820, v182
	v_accvgpr_write_b32 a208, v116
	s_waitcnt lgkmcnt(11)
	v_add_f64 v[116:117], v[128:129], v[136:137]
	v_add_f64 v[118:119], v[130:131], v[138:139]
	s_waitcnt lgkmcnt(10)
	v_add_f64 v[116:117], v[116:117], v[120:121]
	v_add_f64 v[118:119], v[118:119], v[122:123]
	;; [unrolled: 3-line block ×9, first 2 shown]
	s_waitcnt lgkmcnt(2)
	v_add_f64 v[116:117], v[116:117], v[100:101]
	s_mov_b32 s8, 0x4267c47c
	s_mov_b32 s14, 0x42a4c3d2
	;; [unrolled: 1-line block ×5, first 2 shown]
	v_add_f64 v[118:119], v[118:119], v[102:103]
	s_waitcnt lgkmcnt(1)
	v_add_f64 v[116:117], v[116:117], v[132:133]
	s_waitcnt lgkmcnt(0)
	v_add_f64 v[148:149], v[138:139], v[142:143]
	v_add_f64 v[138:139], v[138:139], -v[142:143]
	s_mov_b32 s9, 0xbfddbe06
	s_mov_b32 s0, 0xe00740e9
	;; [unrolled: 1-line block ×11, first 2 shown]
	v_add_f64 v[118:119], v[118:119], v[134:135]
	v_add_f64 v[116:117], v[116:117], v[140:141]
	;; [unrolled: 1-line block ×3, first 2 shown]
	v_add_f64 v[136:137], v[136:137], -v[140:141]
	v_mul_f64 v[140:141], v[138:139], s[8:9]
	s_mov_b32 s1, 0x3fec55a7
	v_mul_f64 v[154:155], v[138:139], s[14:15]
	s_mov_b32 s3, 0x3fe22d96
	;; [unrolled: 2-line block ×6, first 2 shown]
	v_add_f64 v[118:119], v[118:119], v[142:143]
	v_fma_f64 v[142:143], s[0:1], v[146:147], v[140:141]
	v_fma_f64 v[140:141], v[146:147], s[0:1], -v[140:141]
	v_fma_f64 v[156:157], s[2:3], v[146:147], v[154:155]
	v_fma_f64 v[154:155], v[146:147], s[2:3], -v[154:155]
	v_fma_f64 v[164:165], s[12:13], v[146:147], v[162:163]
	v_fma_f64 v[162:163], v[146:147], s[12:13], -v[162:163]
	v_fma_f64 v[176:177], s[16:17], v[146:147], v[174:175]
	v_fma_f64 v[174:175], v[146:147], s[16:17], -v[174:175]
	v_fma_f64 v[184:185], s[20:21], v[146:147], v[168:169]
	v_fma_f64 v[168:169], v[146:147], s[20:21], -v[168:169]
	v_fma_f64 v[190:191], s[26:27], v[146:147], v[138:139]
	v_fma_f64 v[138:139], v[146:147], s[26:27], -v[138:139]
	v_add_f64 v[142:143], v[128:129], v[142:143]
	v_mul_f64 v[150:151], v[148:149], s[0:1]
	s_mov_b32 s25, 0x3fddbe06
	s_mov_b32 s24, s8
	v_add_f64 v[140:141], v[128:129], v[140:141]
	v_add_f64 v[156:157], v[128:129], v[156:157]
	v_mul_f64 v[158:159], v[148:149], s[2:3]
	s_mov_b32 s41, 0x3fea55e2
	s_mov_b32 s40, s14
	v_add_f64 v[154:155], v[128:129], v[154:155]
	;; [unrolled: 5-line block ×4, first 2 shown]
	v_add_f64 v[184:185], v[128:129], v[184:185]
	v_mul_f64 v[186:187], v[148:149], s[20:21]
	s_mov_b32 s36, s28
	v_add_f64 v[168:169], v[128:129], v[168:169]
	v_add_f64 v[190:191], v[128:129], v[190:191]
	v_mul_f64 v[148:149], v[148:149], s[26:27]
	s_mov_b32 s43, 0x3fcea1e5
	s_mov_b32 s42, s30
	v_add_f64 v[128:129], v[128:129], v[138:139]
	v_add_f64 v[138:139], v[122:123], v[134:135]
	v_add_f64 v[122:123], v[122:123], -v[134:135]
	v_fma_f64 v[152:153], s[24:25], v[136:137], v[150:151]
	v_fmac_f64_e32 v[150:151], s[8:9], v[136:137]
	v_fma_f64 v[160:161], s[40:41], v[136:137], v[158:159]
	v_fmac_f64_e32 v[158:159], s[14:15], v[136:137]
	;; [unrolled: 2-line block ×6, first 2 shown]
	v_add_f64 v[136:137], v[120:121], v[132:133]
	v_add_f64 v[120:121], v[120:121], -v[132:133]
	v_mul_f64 v[132:133], v[122:123], s[14:15]
	v_fma_f64 v[134:135], s[2:3], v[136:137], v[132:133]
	v_add_f64 v[134:135], v[134:135], v[142:143]
	v_mul_f64 v[142:143], v[138:139], s[2:3]
	v_add_f64 v[150:151], v[130:131], v[150:151]
	v_fma_f64 v[146:147], s[40:41], v[120:121], v[142:143]
	v_fma_f64 v[132:133], v[136:137], s[2:3], -v[132:133]
	v_fmac_f64_e32 v[142:143], s[14:15], v[120:121]
	v_add_f64 v[132:133], v[132:133], v[140:141]
	v_add_f64 v[140:141], v[142:143], v[150:151]
	v_mul_f64 v[142:143], v[122:123], s[22:23]
	v_add_f64 v[152:153], v[130:131], v[152:153]
	v_add_f64 v[160:161], v[130:131], v[160:161]
	;; [unrolled: 1-line block ×11, first 2 shown]
	v_fma_f64 v[148:149], s[16:17], v[136:137], v[142:143]
	v_mul_f64 v[150:151], v[138:139], s[16:17]
	v_fma_f64 v[142:143], v[136:137], s[16:17], -v[142:143]
	v_add_f64 v[146:147], v[146:147], v[152:153]
	v_fma_f64 v[152:153], s[38:39], v[120:121], v[150:151]
	v_add_f64 v[142:143], v[142:143], v[154:155]
	v_fmac_f64_e32 v[150:151], s[22:23], v[120:121]
	v_mul_f64 v[154:155], v[122:123], s[30:31]
	v_add_f64 v[148:149], v[148:149], v[156:157]
	v_add_f64 v[150:151], v[150:151], v[158:159]
	v_fma_f64 v[156:157], s[26:27], v[136:137], v[154:155]
	v_mul_f64 v[158:159], v[138:139], s[26:27]
	v_fma_f64 v[154:155], v[136:137], s[26:27], -v[154:155]
	v_add_f64 v[152:153], v[152:153], v[160:161]
	v_fma_f64 v[160:161], s[42:43], v[120:121], v[158:159]
	v_add_f64 v[154:155], v[154:155], v[162:163]
	v_fmac_f64_e32 v[158:159], s[30:31], v[120:121]
	v_mul_f64 v[162:163], v[122:123], s[36:37]
	v_add_f64 v[156:157], v[156:157], v[164:165]
	v_add_f64 v[158:159], v[158:159], v[170:171]
	;; [unrolled: 10-line block ×3, first 2 shown]
	v_fma_f64 v[176:177], s[12:13], v[136:137], v[174:175]
	v_mul_f64 v[178:179], v[138:139], s[12:13]
	v_mul_f64 v[138:139], v[138:139], s[0:1]
	v_add_f64 v[172:173], v[172:173], v[180:181]
	v_add_f64 v[176:177], v[176:177], v[184:185]
	v_fma_f64 v[180:181], s[18:19], v[120:121], v[178:179]
	v_fma_f64 v[174:175], v[136:137], s[12:13], -v[174:175]
	v_fmac_f64_e32 v[178:179], s[34:35], v[120:121]
	v_mul_f64 v[122:123], v[122:123], s[24:25]
	v_fma_f64 v[184:185], s[8:9], v[120:121], v[138:139]
	v_fmac_f64_e32 v[138:139], s[24:25], v[120:121]
	v_add_f64 v[168:169], v[174:175], v[168:169]
	v_add_f64 v[174:175], v[178:179], v[186:187]
	v_fma_f64 v[178:179], s[0:1], v[136:137], v[122:123]
	v_fma_f64 v[122:123], v[136:137], s[0:1], -v[122:123]
	v_add_f64 v[120:121], v[138:139], v[130:131]
	v_add_f64 v[130:131], v[98:99], v[102:103]
	v_add_f64 v[98:99], v[98:99], -v[102:103]
	v_add_f64 v[122:123], v[122:123], v[128:129]
	v_add_f64 v[128:129], v[96:97], v[100:101]
	v_add_f64 v[96:97], v[96:97], -v[100:101]
	v_mul_f64 v[100:101], v[98:99], s[18:19]
	v_fma_f64 v[102:103], s[12:13], v[128:129], v[100:101]
	v_add_f64 v[102:103], v[102:103], v[134:135]
	v_mul_f64 v[134:135], v[130:131], s[12:13]
	v_fma_f64 v[136:137], s[34:35], v[96:97], v[134:135]
	v_fma_f64 v[100:101], v[128:129], s[12:13], -v[100:101]
	v_fmac_f64_e32 v[134:135], s[18:19], v[96:97]
	v_add_f64 v[100:101], v[100:101], v[132:133]
	v_add_f64 v[132:133], v[134:135], v[140:141]
	v_mul_f64 v[134:135], v[98:99], s[30:31]
	v_mul_f64 v[140:141], v[130:131], s[26:27]
	v_add_f64 v[136:137], v[136:137], v[146:147]
	v_fma_f64 v[138:139], s[26:27], v[128:129], v[134:135]
	v_fma_f64 v[146:147], s[42:43], v[96:97], v[140:141]
	v_fma_f64 v[134:135], v[128:129], s[26:27], -v[134:135]
	v_fmac_f64_e32 v[140:141], s[30:31], v[96:97]
	v_add_f64 v[134:135], v[134:135], v[142:143]
	v_add_f64 v[140:141], v[140:141], v[150:151]
	v_mul_f64 v[142:143], v[98:99], s[38:39]
	v_mul_f64 v[150:151], v[130:131], s[16:17]
	v_add_f64 v[138:139], v[138:139], v[148:149]
	v_add_f64 v[146:147], v[146:147], v[152:153]
	v_fma_f64 v[148:149], s[16:17], v[128:129], v[142:143]
	v_fma_f64 v[152:153], s[22:23], v[96:97], v[150:151]
	v_fma_f64 v[142:143], v[128:129], s[16:17], -v[142:143]
	v_fmac_f64_e32 v[150:151], s[38:39], v[96:97]
	v_add_f64 v[142:143], v[142:143], v[154:155]
	v_add_f64 v[150:151], v[150:151], v[158:159]
	v_mul_f64 v[154:155], v[98:99], s[24:25]
	v_mul_f64 v[158:159], v[130:131], s[0:1]
	v_add_f64 v[148:149], v[148:149], v[156:157]
	;; [unrolled: 10-line block ×3, first 2 shown]
	v_add_f64 v[160:161], v[160:161], v[172:173]
	v_fma_f64 v[164:165], s[2:3], v[128:129], v[162:163]
	v_fma_f64 v[172:173], s[40:41], v[96:97], v[170:171]
	v_fma_f64 v[162:163], v[128:129], s[2:3], -v[162:163]
	v_fmac_f64_e32 v[170:171], s[14:15], v[96:97]
	v_mul_f64 v[98:99], v[98:99], s[28:29]
	v_add_f64 v[162:163], v[162:163], v[168:169]
	v_add_f64 v[168:169], v[170:171], v[174:175]
	v_fma_f64 v[170:171], s[20:21], v[128:129], v[98:99]
	v_mul_f64 v[130:131], v[130:131], s[20:21]
	v_fma_f64 v[98:99], v[128:129], s[20:21], -v[98:99]
	v_fma_f64 v[174:175], s[36:37], v[96:97], v[130:131]
	v_add_f64 v[98:99], v[98:99], v[122:123]
	v_fmac_f64_e32 v[130:131], s[28:29], v[96:97]
	v_add_f64 v[122:123], v[90:91], v[94:95]
	v_add_f64 v[90:91], v[90:91], -v[94:95]
	v_add_f64 v[96:97], v[130:131], v[120:121]
	v_add_f64 v[120:121], v[88:89], v[92:93]
	v_add_f64 v[88:89], v[88:89], -v[92:93]
	v_mul_f64 v[92:93], v[90:91], s[22:23]
	v_fma_f64 v[94:95], s[16:17], v[120:121], v[92:93]
	v_add_f64 v[94:95], v[94:95], v[102:103]
	v_mul_f64 v[102:103], v[122:123], s[16:17]
	v_fma_f64 v[128:129], s[38:39], v[88:89], v[102:103]
	v_fma_f64 v[92:93], v[120:121], s[16:17], -v[92:93]
	v_fmac_f64_e32 v[102:103], s[22:23], v[88:89]
	v_add_f64 v[92:93], v[92:93], v[100:101]
	v_add_f64 v[100:101], v[102:103], v[132:133]
	v_mul_f64 v[102:103], v[90:91], s[36:37]
	v_fma_f64 v[130:131], s[20:21], v[120:121], v[102:103]
	v_fma_f64 v[102:103], v[120:121], s[20:21], -v[102:103]
	v_mul_f64 v[132:133], v[122:123], s[20:21]
	v_add_f64 v[102:103], v[102:103], v[134:135]
	v_mul_f64 v[134:135], v[90:91], s[24:25]
	v_add_f64 v[128:129], v[128:129], v[136:137]
	v_add_f64 v[130:131], v[130:131], v[138:139]
	v_fma_f64 v[136:137], s[28:29], v[88:89], v[132:133]
	v_fmac_f64_e32 v[132:133], s[36:37], v[88:89]
	v_fma_f64 v[138:139], s[0:1], v[120:121], v[134:135]
	v_fma_f64 v[134:135], v[120:121], s[0:1], -v[134:135]
	v_add_f64 v[132:133], v[132:133], v[140:141]
	v_mul_f64 v[140:141], v[122:123], s[0:1]
	v_add_f64 v[134:135], v[134:135], v[142:143]
	v_mul_f64 v[142:143], v[90:91], s[18:19]
	v_add_f64 v[136:137], v[136:137], v[146:147]
	v_add_f64 v[138:139], v[138:139], v[148:149]
	v_fma_f64 v[146:147], s[8:9], v[88:89], v[140:141]
	v_fmac_f64_e32 v[140:141], s[24:25], v[88:89]
	v_fma_f64 v[148:149], s[12:13], v[120:121], v[142:143]
	v_fma_f64 v[142:143], v[120:121], s[12:13], -v[142:143]
	v_add_f64 v[140:141], v[140:141], v[150:151]
	v_mul_f64 v[150:151], v[122:123], s[12:13]
	v_add_f64 v[142:143], v[142:143], v[154:155]
	v_mul_f64 v[154:155], v[90:91], s[42:43]
	v_add_f64 v[146:147], v[146:147], v[152:153]
	v_add_f64 v[148:149], v[148:149], v[156:157]
	v_fma_f64 v[152:153], s[34:35], v[88:89], v[150:151]
	v_fmac_f64_e32 v[150:151], s[18:19], v[88:89]
	v_fma_f64 v[156:157], s[26:27], v[120:121], v[154:155]
	v_fma_f64 v[154:155], v[120:121], s[26:27], -v[154:155]
	v_mul_f64 v[90:91], v[90:91], s[40:41]
	v_add_f64 v[164:165], v[164:165], v[176:177]
	v_add_f64 v[150:151], v[150:151], v[158:159]
	v_mul_f64 v[158:159], v[122:123], s[26:27]
	v_add_f64 v[154:155], v[154:155], v[162:163]
	v_fma_f64 v[162:163], s[2:3], v[120:121], v[90:91]
	v_mul_f64 v[122:123], v[122:123], s[2:3]
	v_fma_f64 v[90:91], v[120:121], s[2:3], -v[90:91]
	v_add_f64 v[156:157], v[156:157], v[164:165]
	v_fma_f64 v[164:165], s[14:15], v[88:89], v[122:123]
	v_add_f64 v[90:91], v[90:91], v[98:99]
	v_fmac_f64_e32 v[122:123], s[40:41], v[88:89]
	v_add_f64 v[98:99], v[82:83], v[86:87]
	v_add_f64 v[82:83], v[82:83], -v[86:87]
	v_add_f64 v[152:153], v[152:153], v[160:161]
	v_fma_f64 v[160:161], s[30:31], v[88:89], v[158:159]
	v_fmac_f64_e32 v[158:159], s[42:43], v[88:89]
	v_add_f64 v[88:89], v[122:123], v[96:97]
	v_add_f64 v[96:97], v[80:81], v[84:85]
	v_add_f64 v[80:81], v[80:81], -v[84:85]
	v_mul_f64 v[84:85], v[82:83], s[28:29]
	v_fma_f64 v[86:87], s[20:21], v[96:97], v[84:85]
	v_add_f64 v[86:87], v[86:87], v[94:95]
	v_mul_f64 v[94:95], v[98:99], s[20:21]
	v_fma_f64 v[120:121], s[36:37], v[80:81], v[94:95]
	v_fma_f64 v[84:85], v[96:97], s[20:21], -v[84:85]
	v_fmac_f64_e32 v[94:95], s[28:29], v[80:81]
	v_add_f64 v[84:85], v[84:85], v[92:93]
	v_add_f64 v[92:93], v[94:95], v[100:101]
	v_mul_f64 v[94:95], v[82:83], s[34:35]
	v_mul_f64 v[122:123], v[98:99], s[12:13]
	v_add_f64 v[120:121], v[120:121], v[128:129]
	v_fma_f64 v[100:101], s[12:13], v[96:97], v[94:95]
	v_fma_f64 v[128:129], s[18:19], v[80:81], v[122:123]
	v_fma_f64 v[94:95], v[96:97], s[12:13], -v[94:95]
	v_fmac_f64_e32 v[122:123], s[34:35], v[80:81]
	v_add_f64 v[94:95], v[94:95], v[102:103]
	v_add_f64 v[102:103], v[122:123], v[132:133]
	v_mul_f64 v[122:123], v[82:83], s[14:15]
	v_add_f64 v[100:101], v[100:101], v[130:131]
	v_fma_f64 v[130:131], s[2:3], v[96:97], v[122:123]
	v_fma_f64 v[122:123], v[96:97], s[2:3], -v[122:123]
	v_mul_f64 v[132:133], v[98:99], s[2:3]
	v_add_f64 v[122:123], v[122:123], v[134:135]
	v_mul_f64 v[134:135], v[82:83], s[42:43]
	v_add_f64 v[128:129], v[128:129], v[136:137]
	v_add_f64 v[130:131], v[130:131], v[138:139]
	v_fma_f64 v[136:137], s[40:41], v[80:81], v[132:133]
	v_fmac_f64_e32 v[132:133], s[14:15], v[80:81]
	v_fma_f64 v[138:139], s[26:27], v[96:97], v[134:135]
	v_fma_f64 v[134:135], v[96:97], s[26:27], -v[134:135]
	v_add_f64 v[178:179], v[178:179], v[190:191]
	v_add_f64 v[132:133], v[132:133], v[140:141]
	v_mul_f64 v[140:141], v[98:99], s[26:27]
	v_add_f64 v[134:135], v[134:135], v[142:143]
	v_mul_f64 v[142:143], v[82:83], s[24:25]
	v_add_f64 v[184:185], v[184:185], v[192:193]
	v_add_f64 v[170:171], v[170:171], v[178:179]
	v_add_f64 v[136:137], v[136:137], v[146:147]
	v_add_f64 v[138:139], v[138:139], v[148:149]
	v_fma_f64 v[146:147], s[30:31], v[80:81], v[140:141]
	v_fmac_f64_e32 v[140:141], s[42:43], v[80:81]
	v_fma_f64 v[148:149], s[0:1], v[96:97], v[142:143]
	v_fma_f64 v[142:143], v[96:97], s[0:1], -v[142:143]
	v_mul_f64 v[82:83], v[82:83], s[22:23]
	v_add_f64 v[174:175], v[174:175], v[184:185]
	v_add_f64 v[162:163], v[162:163], v[170:171]
	v_add_f64 v[140:141], v[140:141], v[150:151]
	v_mul_f64 v[150:151], v[98:99], s[0:1]
	v_add_f64 v[142:143], v[142:143], v[154:155]
	v_fma_f64 v[154:155], s[16:17], v[96:97], v[82:83]
	v_mul_f64 v[98:99], v[98:99], s[16:17]
	v_add_f64 v[170:171], v[74:75], -v[78:79]
	v_add_f64 v[158:159], v[158:159], v[168:169]
	v_add_f64 v[164:165], v[164:165], v[174:175]
	;; [unrolled: 1-line block ×4, first 2 shown]
	v_fma_f64 v[156:157], s[38:39], v[80:81], v[98:99]
	v_add_f64 v[162:163], v[72:73], v[76:77]
	v_add_f64 v[168:169], v[72:73], -v[76:77]
	v_mul_f64 v[76:77], v[170:171], s[30:31]
	v_add_f64 v[156:157], v[156:157], v[164:165]
	v_add_f64 v[164:165], v[74:75], v[78:79]
	v_fma_f64 v[72:73], s[26:27], v[162:163], v[76:77]
	v_fma_f64 v[76:77], v[162:163], s[26:27], -v[76:77]
	v_add_f64 v[180:181], v[180:181], v[188:189]
	v_mul_f64 v[78:79], v[164:165], s[26:27]
	v_add_f64 v[76:77], v[76:77], v[84:85]
	v_mul_f64 v[84:85], v[170:171], s[24:25]
	v_add_f64 v[172:173], v[172:173], v[180:181]
	v_add_f64 v[146:147], v[146:147], v[152:153]
	v_fma_f64 v[152:153], s[8:9], v[80:81], v[150:151]
	v_fmac_f64_e32 v[150:151], s[24:25], v[80:81]
	v_fmac_f64_e32 v[98:99], s[22:23], v[80:81]
	v_fma_f64 v[74:75], s[42:43], v[168:169], v[78:79]
	v_fmac_f64_e32 v[78:79], s[30:31], v[168:169]
	v_fma_f64 v[80:81], s[0:1], v[162:163], v[84:85]
	v_fma_f64 v[84:85], v[162:163], s[0:1], -v[84:85]
	v_add_f64 v[160:161], v[160:161], v[172:173]
	v_fma_f64 v[82:83], v[96:97], s[16:17], -v[82:83]
	v_add_f64 v[72:73], v[72:73], v[86:87]
	v_add_f64 v[78:79], v[78:79], v[92:93]
	;; [unrolled: 1-line block ×3, first 2 shown]
	v_mul_f64 v[86:87], v[164:165], s[0:1]
	v_add_f64 v[84:85], v[84:85], v[94:95]
	v_mul_f64 v[92:93], v[170:171], s[28:29]
	v_mul_f64 v[94:95], v[164:165], s[20:21]
	v_mul_f64 v[100:101], v[170:171], s[40:41]
	v_add_f64 v[152:153], v[152:153], v[160:161]
	v_add_f64 v[150:151], v[150:151], v[158:159]
	;; [unrolled: 1-line block ×4, first 2 shown]
	v_fma_f64 v[82:83], s[8:9], v[168:169], v[86:87]
	v_fmac_f64_e32 v[86:87], s[24:25], v[168:169]
	v_fma_f64 v[88:89], s[20:21], v[162:163], v[92:93]
	v_fma_f64 v[90:91], s[36:37], v[168:169], v[94:95]
	;; [unrolled: 1-line block ×3, first 2 shown]
	v_add_f64 v[82:83], v[82:83], v[128:129]
	v_add_f64 v[86:87], v[86:87], v[102:103]
	;; [unrolled: 1-line block ×4, first 2 shown]
	v_fma_f64 v[92:93], v[162:163], s[20:21], -v[92:93]
	v_fmac_f64_e32 v[94:95], s[28:29], v[168:169]
	v_add_f64 v[96:97], v[96:97], v[138:139]
	v_mul_f64 v[102:103], v[164:165], s[2:3]
	v_fma_f64 v[100:101], v[162:163], s[2:3], -v[100:101]
	v_mul_f64 v[128:129], v[170:171], s[22:23]
	v_mul_f64 v[130:131], v[164:165], s[16:17]
	;; [unrolled: 1-line block ×4, first 2 shown]
	v_add_u32_e32 v167, 0xc30, v182
	v_add_u32_e32 v203, 0x1040, v182
	v_add_f64 v[74:75], v[74:75], v[120:121]
	v_add_f64 v[92:93], v[92:93], v[122:123]
	v_add_f64 v[94:95], v[94:95], v[132:133]
	v_fma_f64 v[98:99], s[14:15], v[168:169], v[102:103]
	v_add_f64 v[100:101], v[100:101], v[134:135]
	v_fmac_f64_e32 v[102:103], s[40:41], v[168:169]
	v_fma_f64 v[120:121], s[16:17], v[162:163], v[128:129]
	v_fma_f64 v[122:123], s[38:39], v[168:169], v[130:131]
	v_fma_f64 v[128:129], v[162:163], s[16:17], -v[128:129]
	v_fmac_f64_e32 v[130:131], s[22:23], v[168:169]
	v_fma_f64 v[132:133], s[12:13], v[162:163], v[136:137]
	v_fma_f64 v[134:135], s[18:19], v[168:169], v[138:139]
	v_fma_f64 v[136:137], v[162:163], s[12:13], -v[136:137]
	v_fmac_f64_e32 v[138:139], s[34:35], v[168:169]
	v_add_f64 v[98:99], v[98:99], v[146:147]
	v_add_f64 v[102:103], v[102:103], v[140:141]
	;; [unrolled: 1-line block ×10, first 2 shown]
	s_barrier
	ds_write_b128 v183, v[116:119]
	ds_write_b128 v183, v[72:75] offset:16
	ds_write_b128 v183, v[80:83] offset:32
	;; [unrolled: 1-line block ×12, first 2 shown]
	s_and_saveexec_b64 s[44:45], vcc
	s_cbranch_execz .LBB0_13
; %bb.12:
	v_accvgpr_write_b32 a200, v212
	v_accvgpr_write_b32 a201, v213
	;; [unrolled: 1-line block ×4, first 2 shown]
	v_accvgpr_read_b32 v215, a59
	v_accvgpr_read_b32 v213, a57
	;; [unrolled: 1-line block ×4, first 2 shown]
	v_add_f64 v[152:153], v[36:37], -v[212:213]
	v_add_f64 v[150:151], v[40:41], -v[68:69]
	v_mul_f64 v[92:93], v[152:153], s[30:31]
	v_add_f64 v[122:123], v[38:39], v[214:215]
	v_add_f64 v[164:165], v[38:39], -v[214:215]
	v_add_f64 v[148:149], v[44:45], -v[32:33]
	v_mul_f64 v[88:89], v[150:151], s[24:25]
	v_add_f64 v[120:121], v[42:43], v[70:71]
	v_fma_f64 v[94:95], s[26:27], v[122:123], v[92:93]
	v_add_f64 v[162:163], v[42:43], -v[70:71]
	v_add_f64 v[138:139], v[36:37], v[212:213]
	v_mul_f64 v[174:175], v[164:165], s[30:31]
	v_add_f64 v[146:147], v[48:49], -v[64:65]
	v_mul_f64 v[84:85], v[148:149], s[28:29]
	v_add_f64 v[118:119], v[46:47], v[34:35]
	v_fma_f64 v[90:91], s[0:1], v[120:121], v[88:89]
	v_add_f64 v[94:95], v[26:27], v[94:95]
	v_add_f64 v[160:161], v[46:47], -v[34:35]
	v_add_f64 v[136:137], v[40:41], v[68:69]
	v_mul_f64 v[170:171], v[162:163], s[24:25]
	v_fma_f64 v[176:177], v[138:139], s[26:27], -v[174:175]
	v_add_f64 v[142:143], v[28:29], -v[60:61]
	v_mul_f64 v[80:81], v[146:147], s[40:41]
	v_add_f64 v[116:117], v[50:51], v[66:67]
	v_fma_f64 v[86:87], s[20:21], v[118:119], v[84:85]
	v_add_f64 v[90:91], v[90:91], v[94:95]
	v_add_f64 v[158:159], v[50:51], -v[66:67]
	v_add_f64 v[134:135], v[44:45], v[32:33]
	v_mul_f64 v[98:99], v[160:161], s[28:29]
	v_fma_f64 v[172:173], v[136:137], s[0:1], -v[170:171]
	v_add_f64 v[176:177], v[24:25], v[176:177]
	v_add_f64 v[140:141], v[52:53], -v[56:57]
	v_mul_f64 v[78:79], v[142:143], s[22:23]
	v_add_f64 v[102:103], v[30:31], v[62:63]
	v_fma_f64 v[82:83], s[2:3], v[116:117], v[80:81]
	v_add_f64 v[86:87], v[86:87], v[90:91]
	v_add_f64 v[156:157], v[30:31], -v[62:63]
	v_add_f64 v[132:133], v[48:49], v[64:65]
	v_mul_f64 v[94:95], v[158:159], s[40:41]
	v_fma_f64 v[168:169], v[134:135], s[20:21], -v[98:99]
	v_add_f64 v[172:173], v[172:173], v[176:177]
	v_mul_f64 v[76:77], v[140:141], s[34:35]
	v_add_f64 v[100:101], v[54:55], v[58:59]
	v_fma_f64 v[74:75], s[16:17], v[102:103], v[78:79]
	v_add_f64 v[82:83], v[82:83], v[86:87]
	v_add_f64 v[154:155], v[54:55], -v[58:59]
	v_add_f64 v[130:131], v[28:29], v[60:61]
	v_mul_f64 v[86:87], v[156:157], s[22:23]
	v_fma_f64 v[96:97], v[132:133], s[2:3], -v[94:95]
	v_add_f64 v[168:169], v[168:169], v[172:173]
	v_fma_f64 v[72:73], s[12:13], v[100:101], v[76:77]
	v_add_f64 v[74:75], v[74:75], v[82:83]
	v_add_f64 v[128:129], v[52:53], v[56:57]
	v_mul_f64 v[82:83], v[154:155], s[34:35]
	v_fma_f64 v[90:91], v[130:131], s[16:17], -v[86:87]
	v_add_f64 v[96:97], v[96:97], v[168:169]
	v_add_f64 v[74:75], v[72:73], v[74:75]
	v_fma_f64 v[72:73], v[128:129], s[12:13], -v[82:83]
	v_add_f64 v[90:91], v[90:91], v[96:97]
	v_add_f64 v[72:73], v[72:73], v[90:91]
	v_fma_f64 v[90:91], v[122:123], s[26:27], -v[92:93]
	v_fma_f64 v[88:89], v[120:121], s[0:1], -v[88:89]
	v_add_f64 v[90:91], v[26:27], v[90:91]
	v_fma_f64 v[84:85], v[118:119], s[20:21], -v[84:85]
	v_add_f64 v[88:89], v[88:89], v[90:91]
	;; [unrolled: 2-line block ×5, first 2 shown]
	v_fmac_f64_e32 v[174:175], s[26:27], v[138:139]
	v_add_f64 v[78:79], v[76:77], v[78:79]
	v_fmac_f64_e32 v[170:171], s[0:1], v[136:137]
	v_add_f64 v[76:77], v[24:25], v[174:175]
	v_mul_f64 v[168:169], v[152:153], s[28:29]
	v_fmac_f64_e32 v[98:99], s[20:21], v[134:135]
	v_add_f64 v[76:77], v[170:171], v[76:77]
	v_mul_f64 v[96:97], v[150:151], s[34:35]
	v_fma_f64 v[170:171], s[20:21], v[122:123], v[168:169]
	v_mul_f64 v[184:185], v[164:165], s[28:29]
	v_fmac_f64_e32 v[94:95], s[2:3], v[132:133]
	v_add_f64 v[76:77], v[98:99], v[76:77]
	v_mul_f64 v[92:93], v[148:149], s[14:15]
	v_fma_f64 v[98:99], s[12:13], v[120:121], v[96:97]
	v_add_f64 v[170:171], v[26:27], v[170:171]
	v_mul_f64 v[178:179], v[162:163], s[34:35]
	v_fma_f64 v[186:187], v[138:139], s[20:21], -v[184:185]
	v_fmac_f64_e32 v[86:87], s[16:17], v[130:131]
	v_add_f64 v[76:77], v[94:95], v[76:77]
	v_mul_f64 v[88:89], v[146:147], s[42:43]
	v_fma_f64 v[94:95], s[2:3], v[118:119], v[92:93]
	v_add_f64 v[98:99], v[98:99], v[170:171]
	v_mul_f64 v[174:175], v[160:161], s[14:15]
	v_fma_f64 v[180:181], v[136:137], s[12:13], -v[178:179]
	v_add_f64 v[186:187], v[24:25], v[186:187]
	v_fmac_f64_e32 v[82:83], s[12:13], v[128:129]
	v_add_f64 v[76:77], v[86:87], v[76:77]
	v_mul_f64 v[86:87], v[142:143], s[24:25]
	v_fma_f64 v[90:91], s[26:27], v[116:117], v[88:89]
	v_add_f64 v[94:95], v[94:95], v[98:99]
	v_mul_f64 v[170:171], v[158:159], s[42:43]
	v_fma_f64 v[176:177], v[134:135], s[2:3], -v[174:175]
	v_add_f64 v[180:181], v[180:181], v[186:187]
	v_add_f64 v[76:77], v[82:83], v[76:77]
	v_mul_f64 v[84:85], v[140:141], s[22:23]
	v_fma_f64 v[82:83], s[0:1], v[102:103], v[86:87]
	v_add_f64 v[90:91], v[90:91], v[94:95]
	v_mul_f64 v[94:95], v[156:157], s[24:25]
	v_fma_f64 v[172:173], v[132:133], s[26:27], -v[170:171]
	v_add_f64 v[176:177], v[176:177], v[180:181]
	v_fma_f64 v[80:81], s[16:17], v[100:101], v[84:85]
	v_add_f64 v[82:83], v[82:83], v[90:91]
	v_mul_f64 v[90:91], v[154:155], s[22:23]
	v_fma_f64 v[98:99], v[130:131], s[0:1], -v[94:95]
	v_add_f64 v[172:173], v[172:173], v[176:177]
	v_add_f64 v[82:83], v[80:81], v[82:83]
	v_fma_f64 v[80:81], v[128:129], s[16:17], -v[90:91]
	v_add_f64 v[98:99], v[98:99], v[172:173]
	v_add_f64 v[80:81], v[80:81], v[98:99]
	v_fma_f64 v[98:99], v[122:123], s[20:21], -v[168:169]
	v_fma_f64 v[96:97], v[120:121], s[12:13], -v[96:97]
	v_add_f64 v[98:99], v[26:27], v[98:99]
	v_fma_f64 v[92:93], v[118:119], s[2:3], -v[92:93]
	v_add_f64 v[96:97], v[96:97], v[98:99]
	;; [unrolled: 2-line block ×5, first 2 shown]
	v_fmac_f64_e32 v[184:185], s[20:21], v[138:139]
	v_add_f64 v[86:87], v[84:85], v[86:87]
	v_fmac_f64_e32 v[178:179], s[12:13], v[136:137]
	v_add_f64 v[84:85], v[24:25], v[184:185]
	v_mul_f64 v[176:177], v[152:153], s[22:23]
	v_fmac_f64_e32 v[174:175], s[2:3], v[134:135]
	v_add_f64 v[84:85], v[178:179], v[84:85]
	v_mul_f64 v[172:173], v[150:151], s[36:37]
	v_fma_f64 v[178:179], s[16:17], v[122:123], v[176:177]
	v_mul_f64 v[192:193], v[164:165], s[22:23]
	v_fmac_f64_e32 v[170:171], s[26:27], v[132:133]
	v_add_f64 v[84:85], v[174:175], v[84:85]
	v_mul_f64 v[168:169], v[148:149], s[24:25]
	v_fma_f64 v[174:175], s[20:21], v[120:121], v[172:173]
	v_add_f64 v[178:179], v[26:27], v[178:179]
	v_mul_f64 v[188:189], v[162:163], s[36:37]
	v_accvgpr_write_b32 a0, v194
	v_accvgpr_write_b32 a3, v195
	v_fma_f64 v[194:195], v[138:139], s[16:17], -v[192:193]
	v_fmac_f64_e32 v[94:95], s[0:1], v[130:131]
	v_add_f64 v[84:85], v[170:171], v[84:85]
	v_mul_f64 v[96:97], v[146:147], s[18:19]
	v_fma_f64 v[170:171], s[0:1], v[118:119], v[168:169]
	v_add_f64 v[174:175], v[174:175], v[178:179]
	v_mul_f64 v[184:185], v[160:161], s[24:25]
	v_fma_f64 v[190:191], v[136:137], s[20:21], -v[188:189]
	v_add_f64 v[194:195], v[24:25], v[194:195]
	v_fmac_f64_e32 v[90:91], s[16:17], v[128:129]
	v_add_f64 v[84:85], v[94:95], v[84:85]
	v_mul_f64 v[94:95], v[142:143], s[42:43]
	v_fma_f64 v[98:99], s[12:13], v[116:117], v[96:97]
	v_add_f64 v[170:171], v[170:171], v[174:175]
	v_mul_f64 v[178:179], v[158:159], s[18:19]
	v_fma_f64 v[186:187], v[134:135], s[0:1], -v[184:185]
	v_add_f64 v[190:191], v[190:191], v[194:195]
	v_add_f64 v[84:85], v[90:91], v[84:85]
	v_mul_f64 v[92:93], v[140:141], s[40:41]
	v_fma_f64 v[90:91], s[26:27], v[102:103], v[94:95]
	v_add_f64 v[98:99], v[98:99], v[170:171]
	v_mul_f64 v[170:171], v[156:157], s[42:43]
	v_fma_f64 v[180:181], v[132:133], s[12:13], -v[178:179]
	v_add_f64 v[186:187], v[186:187], v[190:191]
	v_fma_f64 v[88:89], s[2:3], v[100:101], v[92:93]
	v_add_f64 v[90:91], v[90:91], v[98:99]
	v_mul_f64 v[98:99], v[154:155], s[40:41]
	v_fma_f64 v[174:175], v[130:131], s[26:27], -v[170:171]
	v_add_f64 v[180:181], v[180:181], v[186:187]
	v_add_f64 v[90:91], v[88:89], v[90:91]
	v_fma_f64 v[88:89], v[128:129], s[2:3], -v[98:99]
	v_add_f64 v[174:175], v[174:175], v[180:181]
	v_add_f64 v[88:89], v[88:89], v[174:175]
	v_fma_f64 v[174:175], v[122:123], s[16:17], -v[176:177]
	v_fma_f64 v[172:173], v[120:121], s[20:21], -v[172:173]
	v_add_f64 v[174:175], v[26:27], v[174:175]
	v_fma_f64 v[168:169], v[118:119], s[0:1], -v[168:169]
	v_add_f64 v[172:173], v[172:173], v[174:175]
	;; [unrolled: 2-line block ×5, first 2 shown]
	v_fmac_f64_e32 v[192:193], s[16:17], v[138:139]
	v_add_f64 v[94:95], v[92:93], v[94:95]
	v_fmac_f64_e32 v[188:189], s[20:21], v[136:137]
	v_add_f64 v[92:93], v[24:25], v[192:193]
	v_mul_f64 v[186:187], v[152:153], s[18:19]
	v_fmac_f64_e32 v[184:185], s[0:1], v[134:135]
	v_add_f64 v[92:93], v[188:189], v[92:93]
	v_mul_f64 v[180:181], v[150:151], s[30:31]
	v_fma_f64 v[188:189], s[12:13], v[122:123], v[186:187]
	v_accvgpr_write_b32 a59, v200
	v_accvgpr_write_b32 a173, v201
	v_mul_f64 v[200:201], v[164:165], s[18:19]
	v_fmac_f64_e32 v[178:179], s[12:13], v[132:133]
	v_add_f64 v[92:93], v[184:185], v[92:93]
	v_mul_f64 v[176:177], v[148:149], s[38:39]
	v_fma_f64 v[184:185], s[26:27], v[120:121], v[180:181]
	v_add_f64 v[188:189], v[26:27], v[188:189]
	v_mov_b32_e32 v183, v196
	v_accvgpr_write_b32 a56, v197
	v_mul_f64 v[196:197], v[162:163], s[30:31]
	v_accvgpr_write_b32 a190, v202
	v_accvgpr_write_b32 a191, v203
	v_fma_f64 v[202:203], v[138:139], s[12:13], -v[200:201]
	v_fmac_f64_e32 v[170:171], s[26:27], v[130:131]
	v_add_f64 v[92:93], v[178:179], v[92:93]
	v_mul_f64 v[172:173], v[146:147], s[24:25]
	v_fma_f64 v[178:179], s[16:17], v[118:119], v[176:177]
	v_add_f64 v[184:185], v[184:185], v[188:189]
	v_mul_f64 v[192:193], v[160:161], s[38:39]
	v_accvgpr_write_b32 a57, v198
	v_accvgpr_write_b32 a58, v199
	v_fma_f64 v[198:199], v[136:137], s[26:27], -v[196:197]
	v_add_f64 v[202:203], v[24:25], v[202:203]
	v_fmac_f64_e32 v[98:99], s[2:3], v[128:129]
	v_add_f64 v[92:93], v[170:171], v[92:93]
	v_mul_f64 v[170:171], v[142:143], s[14:15]
	v_fma_f64 v[174:175], s[0:1], v[116:117], v[172:173]
	v_add_f64 v[178:179], v[178:179], v[184:185]
	v_mul_f64 v[188:189], v[158:159], s[24:25]
	v_fma_f64 v[194:195], v[134:135], s[16:17], -v[192:193]
	v_add_f64 v[198:199], v[198:199], v[202:203]
	v_add_f64 v[92:93], v[98:99], v[92:93]
	v_mul_f64 v[168:169], v[140:141], s[28:29]
	v_fma_f64 v[98:99], s[2:3], v[102:103], v[170:171]
	v_add_f64 v[174:175], v[174:175], v[178:179]
	v_mul_f64 v[178:179], v[156:157], s[14:15]
	v_fma_f64 v[190:191], v[132:133], s[0:1], -v[188:189]
	v_add_f64 v[194:195], v[194:195], v[198:199]
	v_fma_f64 v[96:97], s[20:21], v[100:101], v[168:169]
	v_add_f64 v[98:99], v[98:99], v[174:175]
	v_mul_f64 v[174:175], v[154:155], s[28:29]
	v_fma_f64 v[184:185], v[130:131], s[2:3], -v[178:179]
	v_add_f64 v[190:191], v[190:191], v[194:195]
	v_add_f64 v[98:99], v[96:97], v[98:99]
	v_fma_f64 v[96:97], v[128:129], s[20:21], -v[174:175]
	v_add_f64 v[184:185], v[184:185], v[190:191]
	v_add_f64 v[96:97], v[96:97], v[184:185]
	v_fma_f64 v[184:185], v[122:123], s[12:13], -v[186:187]
	v_fma_f64 v[180:181], v[120:121], s[26:27], -v[180:181]
	v_add_f64 v[184:185], v[26:27], v[184:185]
	v_fma_f64 v[176:177], v[118:119], s[16:17], -v[176:177]
	v_add_f64 v[180:181], v[180:181], v[184:185]
	;; [unrolled: 2-line block ×5, first 2 shown]
	v_fmac_f64_e32 v[200:201], s[12:13], v[138:139]
	v_add_f64 v[172:173], v[168:169], v[170:171]
	v_fmac_f64_e32 v[196:197], s[26:27], v[136:137]
	v_add_f64 v[168:169], v[24:25], v[200:201]
	v_mul_f64 v[194:195], v[152:153], s[14:15]
	v_accvgpr_write_b32 a196, v208
	v_fmac_f64_e32 v[192:193], s[16:17], v[134:135]
	v_add_f64 v[168:169], v[196:197], v[168:169]
	v_mul_f64 v[190:191], v[150:151], s[22:23]
	v_fma_f64 v[196:197], s[2:3], v[122:123], v[194:195]
	v_accvgpr_write_b32 a192, v204
	v_accvgpr_write_b32 a197, v209
	;; [unrolled: 1-line block ×4, first 2 shown]
	v_mul_f64 v[208:209], v[164:165], s[14:15]
	v_fmac_f64_e32 v[188:189], s[0:1], v[132:133]
	v_add_f64 v[168:169], v[192:193], v[168:169]
	v_mul_f64 v[186:187], v[148:149], s[30:31]
	v_fma_f64 v[192:193], s[16:17], v[120:121], v[190:191]
	v_add_f64 v[196:197], v[26:27], v[196:197]
	v_accvgpr_write_b32 a193, v205
	v_accvgpr_write_b32 a194, v206
	;; [unrolled: 1-line block ×3, first 2 shown]
	v_mul_f64 v[204:205], v[162:163], s[22:23]
	v_fma_f64 v[210:211], v[138:139], s[2:3], -v[208:209]
	v_fmac_f64_e32 v[178:179], s[2:3], v[130:131]
	v_add_f64 v[168:169], v[188:189], v[168:169]
	v_mul_f64 v[180:181], v[146:147], s[36:37]
	v_fma_f64 v[188:189], s[26:27], v[118:119], v[186:187]
	v_add_f64 v[192:193], v[192:193], v[196:197]
	v_mul_f64 v[200:201], v[160:161], s[30:31]
	v_fma_f64 v[206:207], v[136:137], s[16:17], -v[204:205]
	v_add_f64 v[210:211], v[24:25], v[210:211]
	v_fmac_f64_e32 v[174:175], s[20:21], v[128:129]
	v_add_f64 v[168:169], v[178:179], v[168:169]
	v_mul_f64 v[178:179], v[142:143], s[34:35]
	v_fma_f64 v[184:185], s[20:21], v[116:117], v[180:181]
	v_add_f64 v[188:189], v[188:189], v[192:193]
	v_mul_f64 v[196:197], v[158:159], s[36:37]
	v_fma_f64 v[202:203], v[134:135], s[26:27], -v[200:201]
	v_add_f64 v[206:207], v[206:207], v[210:211]
	v_add_f64 v[170:171], v[174:175], v[168:169]
	v_mul_f64 v[168:169], v[140:141], s[24:25]
	v_fma_f64 v[176:177], s[12:13], v[102:103], v[178:179]
	v_add_f64 v[184:185], v[184:185], v[188:189]
	v_mul_f64 v[188:189], v[156:157], s[34:35]
	v_fma_f64 v[198:199], v[132:133], s[20:21], -v[196:197]
	v_add_f64 v[202:203], v[202:203], v[206:207]
	v_fma_f64 v[174:175], s[0:1], v[100:101], v[168:169]
	v_add_f64 v[176:177], v[176:177], v[184:185]
	v_mul_f64 v[184:185], v[154:155], s[24:25]
	v_fma_f64 v[192:193], v[130:131], s[12:13], -v[188:189]
	v_add_f64 v[198:199], v[198:199], v[202:203]
	v_add_f64 v[176:177], v[174:175], v[176:177]
	v_fma_f64 v[174:175], v[128:129], s[0:1], -v[184:185]
	v_add_f64 v[192:193], v[192:193], v[198:199]
	v_add_f64 v[174:175], v[174:175], v[192:193]
	v_fma_f64 v[192:193], v[122:123], s[2:3], -v[194:195]
	v_fma_f64 v[190:191], v[120:121], s[16:17], -v[190:191]
	v_add_f64 v[192:193], v[26:27], v[192:193]
	v_fma_f64 v[186:187], v[118:119], s[26:27], -v[186:187]
	v_add_f64 v[190:191], v[190:191], v[192:193]
	;; [unrolled: 2-line block ×5, first 2 shown]
	v_fmac_f64_e32 v[208:209], s[2:3], v[138:139]
	v_add_f64 v[180:181], v[168:169], v[178:179]
	v_fmac_f64_e32 v[204:205], s[16:17], v[136:137]
	v_add_f64 v[168:169], v[24:25], v[208:209]
	v_fmac_f64_e32 v[200:201], s[26:27], v[134:135]
	v_add_f64 v[168:169], v[204:205], v[168:169]
	v_mul_f64 v[152:153], v[152:153], s[8:9]
	v_fmac_f64_e32 v[196:197], s[20:21], v[132:133]
	v_add_f64 v[168:169], v[200:201], v[168:169]
	v_mul_f64 v[150:151], v[150:151], s[14:15]
	v_fma_f64 v[192:193], s[0:1], v[122:123], v[152:153]
	v_fma_f64 v[122:123], v[122:123], s[0:1], -v[152:153]
	v_fmac_f64_e32 v[188:189], s[12:13], v[130:131]
	v_add_f64 v[168:169], v[196:197], v[168:169]
	v_mul_f64 v[148:149], v[148:149], s[18:19]
	v_fma_f64 v[190:191], s[2:3], v[120:121], v[150:151]
	v_fma_f64 v[120:121], v[120:121], s[2:3], -v[150:151]
	v_add_f64 v[122:123], v[26:27], v[122:123]
	v_fmac_f64_e32 v[184:185], s[0:1], v[128:129]
	v_add_f64 v[168:169], v[188:189], v[168:169]
	v_mul_f64 v[146:147], v[146:147], s[22:23]
	v_fma_f64 v[188:189], s[12:13], v[118:119], v[148:149]
	v_fma_f64 v[118:119], v[118:119], s[12:13], -v[148:149]
	v_add_f64 v[120:121], v[120:121], v[122:123]
	v_add_f64 v[178:179], v[184:185], v[168:169]
	v_mul_f64 v[184:185], v[142:143], s[28:29]
	v_fma_f64 v[186:187], s[16:17], v[116:117], v[146:147]
	v_fma_f64 v[116:117], v[116:117], s[16:17], -v[146:147]
	v_add_f64 v[118:119], v[118:119], v[120:121]
	v_mul_f64 v[168:169], v[140:141], s[30:31]
	v_fma_f64 v[142:143], s[20:21], v[102:103], v[184:185]
	v_mul_f64 v[164:165], v[164:165], s[8:9]
	v_fma_f64 v[102:103], v[102:103], s[20:21], -v[184:185]
	v_add_f64 v[116:117], v[116:117], v[118:119]
	v_fma_f64 v[140:141], s[26:27], v[100:101], v[168:169]
	v_fma_f64 v[194:195], v[138:139], s[0:1], -v[164:165]
	v_fma_f64 v[100:101], v[100:101], s[26:27], -v[168:169]
	v_add_f64 v[102:103], v[102:103], v[116:117]
	v_fmac_f64_e32 v[164:165], s[0:1], v[138:139]
	v_add_f64 v[192:193], v[26:27], v[192:193]
	v_add_f64 v[194:195], v[24:25], v[194:195]
	;; [unrolled: 1-line block ×18, first 2 shown]
	v_mul_f64 v[162:163], v[162:163], s[14:15]
	v_add_f64 v[26:27], v[26:27], v[62:63]
	v_add_f64 v[24:25], v[24:25], v[60:61]
	;; [unrolled: 1-line block ×3, first 2 shown]
	v_mul_f64 v[160:161], v[160:161], s[18:19]
	v_fma_f64 v[192:193], v[136:137], s[2:3], -v[162:163]
	v_fmac_f64_e32 v[162:163], s[2:3], v[136:137]
	v_add_f64 v[26:27], v[26:27], v[66:67]
	v_add_f64 v[24:25], v[24:25], v[64:65]
	v_add_f64 v[188:189], v[188:189], v[190:191]
	v_mul_f64 v[158:159], v[158:159], s[22:23]
	v_fma_f64 v[190:191], v[134:135], s[12:13], -v[160:161]
	v_add_f64 v[192:193], v[192:193], v[194:195]
	v_fmac_f64_e32 v[160:161], s[12:13], v[134:135]
	v_add_f64 v[100:101], v[162:163], v[100:101]
	v_add_f64 v[26:27], v[26:27], v[34:35]
	v_add_f64 v[24:25], v[24:25], v[32:33]
	v_add_f64 v[186:187], v[186:187], v[188:189]
	v_mul_f64 v[156:157], v[156:157], s[28:29]
	v_fma_f64 v[188:189], v[132:133], s[16:17], -v[158:159]
	v_add_f64 v[190:191], v[190:191], v[192:193]
	v_fmac_f64_e32 v[158:159], s[16:17], v[132:133]
	v_add_f64 v[100:101], v[160:161], v[100:101]
	v_add_f64 v[26:27], v[26:27], v[70:71]
	;; [unrolled: 1-line block ×3, first 2 shown]
	v_accvgpr_read_b32 v211, a199
	v_accvgpr_read_b32 v207, a195
	v_add_f64 v[142:143], v[142:143], v[186:187]
	v_mul_f64 v[154:155], v[154:155], s[30:31]
	v_fma_f64 v[186:187], v[130:131], s[20:21], -v[156:157]
	v_add_f64 v[188:189], v[188:189], v[190:191]
	v_fmac_f64_e32 v[156:157], s[20:21], v[130:131]
	v_add_f64 v[100:101], v[158:159], v[100:101]
	v_add_f64 v[26:27], v[26:27], v[214:215]
	;; [unrolled: 1-line block ×3, first 2 shown]
	v_accvgpr_read_b32 v215, a203
	v_accvgpr_read_b32 v28, a1
	;; [unrolled: 1-line block ×15, first 2 shown]
	v_add_f64 v[142:143], v[140:141], v[142:143]
	v_fma_f64 v[140:141], v[128:129], s[26:27], -v[154:155]
	v_accvgpr_read_b32 v195, a3
	v_accvgpr_read_b32 v194, a0
	v_add_f64 v[186:187], v[186:187], v[188:189]
	v_fmac_f64_e32 v[154:155], s[26:27], v[128:129]
	v_add_f64 v[100:101], v[156:157], v[100:101]
	v_accvgpr_read_b32 v214, a202
	v_accvgpr_read_b32 v213, a201
	;; [unrolled: 1-line block ×3, first 2 shown]
	v_lshl_add_u32 v28, v28, 4, v183
	v_add_f64 v[140:141], v[140:141], v[186:187]
	v_add_f64 v[100:101], v[154:155], v[100:101]
	ds_write_b128 v28, v[24:27]
	ds_write_b128 v28, v[100:103] offset:16
	ds_write_b128 v28, v[178:181] offset:32
	;; [unrolled: 1-line block ×12, first 2 shown]
.LBB0_13:
	s_or_b64 exec, exec, s[44:45]
	s_waitcnt lgkmcnt(0)
	s_barrier
	ds_read_b128 v[28:31], v182 offset:5200
	ds_read_b128 v[24:27], v182 offset:4160
	v_accvgpr_read_b32 v32, a72
	v_accvgpr_read_b32 v34, a74
	v_accvgpr_read_b32 v35, a75
	v_accvgpr_read_b32 v33, a73
	s_waitcnt lgkmcnt(1)
	v_mul_f64 v[130:131], v[34:35], v[30:31]
	v_fmac_f64_e32 v[130:131], v[32:33], v[28:29]
	v_mul_f64 v[28:29], v[34:35], v[28:29]
	v_fma_f64 v[128:129], v[32:33], v[30:31], -v[28:29]
	ds_read_b128 v[28:31], v182 offset:10400
	ds_read_b128 v[32:35], v182 offset:11440
	v_accvgpr_read_b32 v36, a68
	v_accvgpr_read_b32 v38, a70
	v_accvgpr_read_b32 v39, a71
	v_accvgpr_read_b32 v37, a69
	s_waitcnt lgkmcnt(1)
	v_mul_f64 v[134:135], v[38:39], v[30:31]
	v_fmac_f64_e32 v[134:135], v[36:37], v[28:29]
	v_mul_f64 v[28:29], v[38:39], v[28:29]
	v_fma_f64 v[132:133], v[36:37], v[30:31], -v[28:29]
	;; [unrolled: 11-line block ×5, first 2 shown]
	v_accvgpr_read_b32 v48, a84
	v_accvgpr_read_b32 v50, a86
	;; [unrolled: 1-line block ×4, first 2 shown]
	v_mul_f64 v[102:103], v[50:51], v[34:35]
	v_mul_f64 v[28:29], v[50:51], v[32:33]
	v_fmac_f64_e32 v[102:103], v[48:49], v[32:33]
	v_fma_f64 v[100:101], v[48:49], v[34:35], -v[28:29]
	ds_read_b128 v[28:31], v182 offset:16640
	ds_read_b128 v[32:35], v182 offset:17680
	v_accvgpr_read_b32 v48, a80
	v_accvgpr_read_b32 v50, a82
	;; [unrolled: 1-line block ×4, first 2 shown]
	s_waitcnt lgkmcnt(1)
	v_mul_f64 v[118:119], v[50:51], v[30:31]
	v_fmac_f64_e32 v[118:119], v[48:49], v[28:29]
	v_mul_f64 v[28:29], v[50:51], v[28:29]
	v_fma_f64 v[116:117], v[48:49], v[30:31], -v[28:29]
	v_accvgpr_read_b32 v48, a76
	v_accvgpr_read_b32 v50, a78
	;; [unrolled: 1-line block ×4, first 2 shown]
	v_mul_f64 v[122:123], v[50:51], v[42:43]
	v_mul_f64 v[28:29], v[50:51], v[40:41]
	v_fmac_f64_e32 v[122:123], v[48:49], v[40:41]
	v_fma_f64 v[120:121], v[48:49], v[42:43], -v[28:29]
	v_accvgpr_read_b32 v40, a104
	v_accvgpr_read_b32 v42, a106
	;; [unrolled: 1-line block ×4, first 2 shown]
	v_mul_f64 v[82:83], v[42:43], v[46:47]
	v_mul_f64 v[28:29], v[42:43], v[44:45]
	v_fmac_f64_e32 v[82:83], v[40:41], v[44:45]
	v_fma_f64 v[80:81], v[40:41], v[46:47], -v[28:29]
	ds_read_b128 v[28:31], v182 offset:12480
	ds_read_b128 v[40:43], v182 offset:13520
	v_accvgpr_read_b32 v44, a100
	v_accvgpr_read_b32 v46, a102
	;; [unrolled: 1-line block ×4, first 2 shown]
	s_waitcnt lgkmcnt(1)
	v_mul_f64 v[86:87], v[46:47], v[30:31]
	v_fmac_f64_e32 v[86:87], v[44:45], v[28:29]
	v_mul_f64 v[28:29], v[46:47], v[28:29]
	v_fma_f64 v[84:85], v[44:45], v[30:31], -v[28:29]
	v_accvgpr_read_b32 v44, a96
	v_accvgpr_read_b32 v46, a98
	;; [unrolled: 1-line block ×4, first 2 shown]
	v_mul_f64 v[90:91], v[46:47], v[34:35]
	v_mul_f64 v[28:29], v[46:47], v[32:33]
	v_fmac_f64_e32 v[90:91], v[44:45], v[32:33]
	v_fma_f64 v[88:89], v[44:45], v[34:35], -v[28:29]
	ds_read_b128 v[28:31], v182 offset:22880
	ds_read_b128 v[32:35], v182 offset:23920
	v_accvgpr_read_b32 v44, a92
	v_accvgpr_read_b32 v46, a94
	v_accvgpr_read_b32 v47, a95
	v_accvgpr_read_b32 v45, a93
	s_waitcnt lgkmcnt(1)
	v_mul_f64 v[94:95], v[46:47], v[30:31]
	v_fmac_f64_e32 v[94:95], v[44:45], v[28:29]
	v_mul_f64 v[28:29], v[46:47], v[28:29]
	v_fma_f64 v[92:93], v[44:45], v[30:31], -v[28:29]
	ds_read_b128 v[28:31], v182 offset:8320
	ds_read_b128 v[44:47], v182 offset:9360
	v_accvgpr_read_b32 v48, a120
	v_accvgpr_read_b32 v50, a122
	;; [unrolled: 1-line block ×4, first 2 shown]
	s_waitcnt lgkmcnt(1)
	v_mul_f64 v[68:69], v[50:51], v[30:31]
	v_fmac_f64_e32 v[68:69], v[48:49], v[28:29]
	v_mul_f64 v[28:29], v[50:51], v[28:29]
	v_accvgpr_read_b32 v50, a116
	v_accvgpr_read_b32 v52, a118
	v_accvgpr_read_b32 v53, a119
	v_fma_f64 v[48:49], v[48:49], v[30:31], -v[28:29]
	v_accvgpr_read_b32 v51, a117
	v_mul_f64 v[72:73], v[52:53], v[42:43]
	v_mul_f64 v[28:29], v[52:53], v[40:41]
	v_fmac_f64_e32 v[72:73], v[50:51], v[40:41]
	v_fma_f64 v[66:67], v[50:51], v[42:43], -v[28:29]
	ds_read_b128 v[28:31], v182 offset:18720
	ds_read_b128 v[40:43], v182 offset:19760
	v_accvgpr_read_b32 v50, a112
	v_accvgpr_read_b32 v52, a114
	;; [unrolled: 1-line block ×4, first 2 shown]
	s_waitcnt lgkmcnt(1)
	v_mul_f64 v[76:77], v[52:53], v[30:31]
	v_fmac_f64_e32 v[76:77], v[50:51], v[28:29]
	v_mul_f64 v[28:29], v[52:53], v[28:29]
	v_fma_f64 v[70:71], v[50:51], v[30:31], -v[28:29]
	v_accvgpr_read_b32 v50, a108
	v_accvgpr_read_b32 v52, a110
	;; [unrolled: 1-line block ×4, first 2 shown]
	v_mul_f64 v[78:79], v[52:53], v[34:35]
	v_fmac_f64_e32 v[78:79], v[50:51], v[32:33]
	v_mul_f64 v[28:29], v[52:53], v[32:33]
	v_accvgpr_read_b32 v30, a148
	v_accvgpr_read_b32 v32, a150
	;; [unrolled: 1-line block ×3, first 2 shown]
	v_fma_f64 v[74:75], v[50:51], v[34:35], -v[28:29]
	v_accvgpr_read_b32 v31, a149
	v_mul_f64 v[54:55], v[32:33], v[46:47]
	v_mul_f64 v[28:29], v[32:33], v[44:45]
	v_fmac_f64_e32 v[54:55], v[30:31], v[44:45]
	v_fma_f64 v[50:51], v[30:31], v[46:47], -v[28:29]
	v_accvgpr_read_b32 v30, a140
	v_accvgpr_read_b32 v32, a142
	;; [unrolled: 1-line block ×4, first 2 shown]
	v_mul_f64 v[58:59], v[32:33], v[38:39]
	v_mul_f64 v[28:29], v[32:33], v[36:37]
	v_fmac_f64_e32 v[58:59], v[30:31], v[36:37]
	v_fma_f64 v[52:53], v[30:31], v[38:39], -v[28:29]
	v_accvgpr_read_b32 v30, a132
	v_accvgpr_read_b32 v32, a134
	;; [unrolled: 1-line block ×4, first 2 shown]
	s_waitcnt lgkmcnt(0)
	v_mul_f64 v[62:63], v[32:33], v[42:43]
	v_mul_f64 v[28:29], v[32:33], v[40:41]
	v_fmac_f64_e32 v[62:63], v[30:31], v[40:41]
	v_fma_f64 v[56:57], v[30:31], v[42:43], -v[28:29]
	ds_read_b128 v[28:31], v182 offset:24960
	v_accvgpr_read_b32 v32, a124
	ds_read_b128 v[40:43], v182
	ds_read_b128 v[36:39], v182 offset:1040
	v_accvgpr_read_b32 v34, a126
	v_accvgpr_read_b32 v35, a127
	;; [unrolled: 1-line block ×3, first 2 shown]
	s_waitcnt lgkmcnt(2)
	v_mul_f64 v[64:65], v[34:35], v[30:31]
	v_fmac_f64_e32 v[64:65], v[32:33], v[28:29]
	v_mul_f64 v[28:29], v[34:35], v[28:29]
	v_fma_f64 v[60:61], v[32:33], v[30:31], -v[28:29]
	s_waitcnt lgkmcnt(1)
	v_add_f64 v[28:29], v[40:41], v[130:131]
	v_add_f64 v[30:31], v[42:43], v[128:129]
	;; [unrolled: 1-line block ×8, first 2 shown]
	v_accvgpr_read_b32 v162, a172
	ds_read_b128 v[32:35], v182 offset:2080
	ds_read_b128 v[28:31], v182 offset:3120
	s_waitcnt lgkmcnt(0)
	s_barrier
	ds_write_b128 v162, v[44:47]
	v_add_f64 v[44:45], v[130:131], -v[134:135]
	v_add_f64 v[46:47], v[142:143], -v[138:139]
	v_add_f64 v[150:151], v[44:45], v[46:47]
	v_add_f64 v[44:45], v[134:135], v[138:139]
	;; [unrolled: 1-line block ×3, first 2 shown]
	s_mov_b32 s12, 0x134454ff
	v_fma_f64 v[44:45], -0.5, v[44:45], v[40:41]
	v_fma_f64 v[46:47], -0.5, v[46:47], v[42:43]
	v_add_f64 v[146:147], v[128:129], -v[132:133]
	v_add_f64 v[148:149], v[140:141], -v[136:137]
	s_mov_b32 s13, 0xbfee6f0e
	s_mov_b32 s0, 0x4755a5e
	v_add_f64 v[154:155], v[128:129], -v[140:141]
	s_mov_b32 s9, 0x3fee6f0e
	s_mov_b32 s8, s12
	v_add_f64 v[158:159], v[130:131], -v[142:143]
	v_add_f64 v[152:153], v[146:147], v[148:149]
	s_mov_b32 s1, 0xbfe2cf23
	v_add_f64 v[156:157], v[132:133], -v[136:137]
	v_fma_f64 v[146:147], s[12:13], v[154:155], v[44:45]
	s_mov_b32 s2, 0x372fe950
	s_mov_b32 s15, 0x3fe2cf23
	;; [unrolled: 1-line block ×3, first 2 shown]
	v_fma_f64 v[148:149], s[8:9], v[158:159], v[46:47]
	v_add_f64 v[160:161], v[134:135], -v[138:139]
	v_fmac_f64_e32 v[146:147], s[0:1], v[156:157]
	s_mov_b32 s3, 0x3fd3c6ef
	v_fmac_f64_e32 v[148:149], s[14:15], v[160:161]
	v_fmac_f64_e32 v[146:147], s[2:3], v[150:151]
	;; [unrolled: 1-line block ×3, first 2 shown]
	ds_write_b128 v162, v[146:149] offset:208
	v_add_f64 v[146:147], v[130:131], v[142:143]
	v_add_f64 v[130:131], v[134:135], -v[130:131]
	v_add_f64 v[134:135], v[138:139], -v[142:143]
	v_add_f64 v[134:135], v[130:131], v[134:135]
	v_add_f64 v[130:131], v[128:129], v[140:141]
	v_fmac_f64_e32 v[40:41], -0.5, v[146:147]
	v_fmac_f64_e32 v[42:43], -0.5, v[130:131]
	v_add_f64 v[128:129], v[132:133], -v[128:129]
	v_add_f64 v[130:131], v[136:137], -v[140:141]
	v_add_f64 v[132:133], v[128:129], v[130:131]
	v_fma_f64 v[128:129], s[8:9], v[156:157], v[40:41]
	v_fma_f64 v[130:131], s[12:13], v[160:161], v[42:43]
	v_fmac_f64_e32 v[40:41], s[12:13], v[156:157]
	v_fmac_f64_e32 v[42:43], s[8:9], v[160:161]
	;; [unrolled: 1-line block ×6, first 2 shown]
	ds_write_b128 v162, v[40:43] offset:624
	v_add_f64 v[40:41], v[36:37], v[98:99]
	v_add_f64 v[42:43], v[38:39], v[96:97]
	v_fmac_f64_e32 v[44:45], s[8:9], v[154:155]
	v_fmac_f64_e32 v[46:47], s[12:13], v[158:159]
	v_add_f64 v[40:41], v[40:41], v[102:103]
	v_add_f64 v[42:43], v[42:43], v[100:101]
	v_fmac_f64_e32 v[128:129], s[0:1], v[154:155]
	v_fmac_f64_e32 v[130:131], s[14:15], v[158:159]
	v_fmac_f64_e32 v[44:45], s[14:15], v[156:157]
	v_fmac_f64_e32 v[46:47], s[0:1], v[160:161]
	v_add_f64 v[40:41], v[40:41], v[118:119]
	v_add_f64 v[42:43], v[42:43], v[116:117]
	v_fmac_f64_e32 v[128:129], s[2:3], v[134:135]
	v_fmac_f64_e32 v[130:131], s[2:3], v[132:133]
	;; [unrolled: 1-line block ×4, first 2 shown]
	v_add_f64 v[40:41], v[40:41], v[122:123]
	v_add_f64 v[42:43], v[42:43], v[120:121]
	ds_write_b128 v162, v[128:131] offset:416
	ds_write_b128 v162, v[44:47] offset:832
	ds_write_b128 v199, v[40:43]
	v_add_f64 v[40:41], v[98:99], -v[102:103]
	v_add_f64 v[42:43], v[122:123], -v[118:119]
	v_add_f64 v[128:129], v[40:41], v[42:43]
	v_add_f64 v[40:41], v[102:103], v[118:119]
	;; [unrolled: 1-line block ×3, first 2 shown]
	v_fma_f64 v[40:41], -0.5, v[40:41], v[36:37]
	v_fma_f64 v[42:43], -0.5, v[42:43], v[38:39]
	v_add_f64 v[44:45], v[96:97], -v[100:101]
	v_add_f64 v[46:47], v[120:121], -v[116:117]
	v_add_f64 v[132:133], v[96:97], -v[120:121]
	v_add_f64 v[136:137], v[98:99], -v[122:123]
	v_add_f64 v[130:131], v[44:45], v[46:47]
	v_add_f64 v[134:135], v[100:101], -v[116:117]
	v_fma_f64 v[44:45], s[12:13], v[132:133], v[40:41]
	v_fma_f64 v[46:47], s[8:9], v[136:137], v[42:43]
	v_add_f64 v[138:139], v[102:103], -v[118:119]
	v_fmac_f64_e32 v[44:45], s[0:1], v[134:135]
	v_fmac_f64_e32 v[46:47], s[14:15], v[138:139]
	;; [unrolled: 1-line block ×4, first 2 shown]
	ds_write_b128 v199, v[44:47] offset:208
	v_add_f64 v[44:45], v[98:99], v[122:123]
	v_fmac_f64_e32 v[36:37], -0.5, v[44:45]
	v_add_f64 v[44:45], v[102:103], -v[98:99]
	v_add_f64 v[46:47], v[118:119], -v[122:123]
	v_add_f64 v[98:99], v[44:45], v[46:47]
	v_add_f64 v[44:45], v[96:97], v[120:121]
	v_fmac_f64_e32 v[38:39], -0.5, v[44:45]
	v_add_f64 v[44:45], v[100:101], -v[96:97]
	v_add_f64 v[46:47], v[116:117], -v[120:121]
	v_add_f64 v[96:97], v[44:45], v[46:47]
	v_fma_f64 v[44:45], s[8:9], v[134:135], v[36:37]
	v_fma_f64 v[46:47], s[12:13], v[138:139], v[38:39]
	v_fmac_f64_e32 v[36:37], s[12:13], v[134:135]
	v_fmac_f64_e32 v[38:39], s[8:9], v[138:139]
	;; [unrolled: 1-line block ×6, first 2 shown]
	ds_write_b128 v199, v[36:39] offset:624
	v_add_f64 v[36:37], v[32:33], v[82:83]
	v_add_f64 v[38:39], v[34:35], v[80:81]
	v_fmac_f64_e32 v[40:41], s[8:9], v[132:133]
	v_fmac_f64_e32 v[42:43], s[12:13], v[136:137]
	v_add_f64 v[36:37], v[36:37], v[86:87]
	v_add_f64 v[38:39], v[38:39], v[84:85]
	v_fmac_f64_e32 v[44:45], s[0:1], v[132:133]
	v_fmac_f64_e32 v[46:47], s[14:15], v[136:137]
	;; [unrolled: 1-line block ×4, first 2 shown]
	v_add_f64 v[36:37], v[36:37], v[90:91]
	v_add_f64 v[38:39], v[38:39], v[88:89]
	v_fmac_f64_e32 v[44:45], s[2:3], v[98:99]
	v_fmac_f64_e32 v[46:47], s[2:3], v[96:97]
	;; [unrolled: 1-line block ×4, first 2 shown]
	v_add_f64 v[36:37], v[36:37], v[94:95]
	v_add_f64 v[38:39], v[38:39], v[92:93]
	ds_write_b128 v199, v[44:47] offset:416
	ds_write_b128 v199, v[40:43] offset:832
	ds_write_b128 v198, v[36:39]
	v_add_f64 v[36:37], v[82:83], -v[86:87]
	v_add_f64 v[38:39], v[94:95], -v[90:91]
	v_add_f64 v[44:45], v[36:37], v[38:39]
	v_add_f64 v[36:37], v[86:87], v[90:91]
	;; [unrolled: 1-line block ×3, first 2 shown]
	v_fma_f64 v[36:37], -0.5, v[36:37], v[32:33]
	v_fma_f64 v[38:39], -0.5, v[38:39], v[34:35]
	v_add_f64 v[40:41], v[80:81], -v[84:85]
	v_add_f64 v[42:43], v[92:93], -v[88:89]
	;; [unrolled: 1-line block ×4, first 2 shown]
	v_add_f64 v[46:47], v[40:41], v[42:43]
	v_add_f64 v[98:99], v[84:85], -v[88:89]
	v_fma_f64 v[40:41], s[12:13], v[96:97], v[36:37]
	v_fma_f64 v[42:43], s[8:9], v[100:101], v[38:39]
	v_add_f64 v[102:103], v[86:87], -v[90:91]
	v_fmac_f64_e32 v[40:41], s[0:1], v[98:99]
	v_fmac_f64_e32 v[42:43], s[14:15], v[102:103]
	;; [unrolled: 1-line block ×4, first 2 shown]
	ds_write_b128 v198, v[40:43] offset:208
	v_add_f64 v[40:41], v[82:83], v[94:95]
	v_fmac_f64_e32 v[32:33], -0.5, v[40:41]
	v_add_f64 v[40:41], v[86:87], -v[82:83]
	v_add_f64 v[42:43], v[90:91], -v[94:95]
	v_add_f64 v[82:83], v[40:41], v[42:43]
	v_add_f64 v[40:41], v[80:81], v[92:93]
	v_fmac_f64_e32 v[34:35], -0.5, v[40:41]
	v_add_f64 v[40:41], v[84:85], -v[80:81]
	v_add_f64 v[42:43], v[88:89], -v[92:93]
	v_add_f64 v[80:81], v[40:41], v[42:43]
	v_fma_f64 v[40:41], s[8:9], v[98:99], v[32:33]
	v_fma_f64 v[42:43], s[12:13], v[102:103], v[34:35]
	v_fmac_f64_e32 v[32:33], s[12:13], v[98:99]
	v_fmac_f64_e32 v[34:35], s[8:9], v[102:103]
	;; [unrolled: 1-line block ×8, first 2 shown]
	ds_write_b128 v198, v[32:35] offset:624
	v_fmac_f64_e32 v[36:37], s[14:15], v[98:99]
	v_fmac_f64_e32 v[38:39], s[0:1], v[102:103]
	v_add_f64 v[32:33], v[68:69], -v[72:73]
	v_add_f64 v[34:35], v[78:79], -v[76:77]
	v_fmac_f64_e32 v[40:41], s[0:1], v[96:97]
	v_fmac_f64_e32 v[42:43], s[14:15], v[100:101]
	;; [unrolled: 1-line block ×4, first 2 shown]
	v_add_f64 v[34:35], v[32:33], v[34:35]
	v_add_f64 v[32:33], v[72:73], v[76:77]
	v_fmac_f64_e32 v[40:41], s[2:3], v[82:83]
	v_fmac_f64_e32 v[42:43], s[2:3], v[80:81]
	ds_write_b128 v198, v[36:39] offset:832
	v_fma_f64 v[32:33], -0.5, v[32:33], v[28:29]
	v_add_f64 v[38:39], v[48:49], -v[74:75]
	ds_write_b128 v198, v[40:43] offset:416
	v_add_f64 v[40:41], v[66:67], -v[70:71]
	v_fma_f64 v[80:81], s[12:13], v[38:39], v[32:33]
	v_fmac_f64_e32 v[32:33], s[8:9], v[38:39]
	v_fmac_f64_e32 v[80:81], s[0:1], v[40:41]
	;; [unrolled: 1-line block ×3, first 2 shown]
	v_add_f64 v[36:37], v[68:69], v[78:79]
	v_fmac_f64_e32 v[80:81], s[2:3], v[34:35]
	v_fmac_f64_e32 v[32:33], s[2:3], v[34:35]
	v_add_f64 v[34:35], v[28:29], v[68:69]
	v_fmac_f64_e32 v[28:29], -0.5, v[36:37]
	v_add_f64 v[36:37], v[72:73], -v[68:69]
	v_add_f64 v[42:43], v[76:77], -v[78:79]
	v_add_f64 v[42:43], v[36:37], v[42:43]
	v_fma_f64 v[36:37], s[8:9], v[40:41], v[28:29]
	v_fmac_f64_e32 v[28:29], s[12:13], v[40:41]
	v_add_f64 v[34:35], v[34:35], v[72:73]
	v_fmac_f64_e32 v[36:37], s[0:1], v[38:39]
	v_fmac_f64_e32 v[28:29], s[14:15], v[38:39]
	v_add_f64 v[34:35], v[34:35], v[76:77]
	v_add_f64 v[38:39], v[30:31], v[48:49]
	;; [unrolled: 1-line block ×6, first 2 shown]
	v_fma_f64 v[34:35], -0.5, v[34:35], v[30:31]
	v_add_f64 v[40:41], v[68:69], -v[78:79]
	v_fmac_f64_e32 v[36:37], s[2:3], v[42:43]
	v_fmac_f64_e32 v[28:29], s[2:3], v[42:43]
	v_add_f64 v[86:87], v[38:39], v[74:75]
	v_add_f64 v[42:43], v[72:73], -v[76:77]
	v_add_f64 v[38:39], v[48:49], -v[66:67]
	;; [unrolled: 1-line block ×3, first 2 shown]
	v_fma_f64 v[82:83], s[8:9], v[40:41], v[34:35]
	v_fmac_f64_e32 v[34:35], s[12:13], v[40:41]
	v_add_f64 v[38:39], v[38:39], v[44:45]
	v_fmac_f64_e32 v[82:83], s[14:15], v[42:43]
	v_fmac_f64_e32 v[34:35], s[0:1], v[42:43]
	v_fmac_f64_e32 v[82:83], s[2:3], v[38:39]
	v_fmac_f64_e32 v[34:35], s[2:3], v[38:39]
	v_add_f64 v[38:39], v[48:49], v[74:75]
	v_fmac_f64_e32 v[30:31], -0.5, v[38:39]
	v_add_f64 v[38:39], v[66:67], -v[48:49]
	v_add_f64 v[44:45], v[70:71], -v[74:75]
	v_add_f64 v[44:45], v[38:39], v[44:45]
	v_fma_f64 v[38:39], s[12:13], v[42:43], v[30:31]
	v_fmac_f64_e32 v[30:31], s[8:9], v[42:43]
	v_fmac_f64_e32 v[38:39], s[14:15], v[40:41]
	;; [unrolled: 1-line block ×3, first 2 shown]
	v_add_f64 v[40:41], v[54:55], -v[58:59]
	v_add_f64 v[42:43], v[64:65], -v[62:63]
	v_add_f64 v[42:43], v[40:41], v[42:43]
	v_add_f64 v[40:41], v[58:59], v[62:63]
	v_fma_f64 v[40:41], -0.5, v[40:41], v[24:25]
	v_add_f64 v[46:47], v[50:51], -v[60:61]
	v_fmac_f64_e32 v[38:39], s[2:3], v[44:45]
	v_fmac_f64_e32 v[30:31], s[2:3], v[44:45]
	v_add_f64 v[66:67], v[52:53], -v[56:57]
	v_fma_f64 v[44:45], s[12:13], v[46:47], v[40:41]
	v_fmac_f64_e32 v[40:41], s[8:9], v[46:47]
	v_fmac_f64_e32 v[44:45], s[0:1], v[66:67]
	;; [unrolled: 1-line block ×3, first 2 shown]
	v_add_f64 v[48:49], v[54:55], v[64:65]
	v_fmac_f64_e32 v[44:45], s[2:3], v[42:43]
	v_fmac_f64_e32 v[40:41], s[2:3], v[42:43]
	v_add_f64 v[42:43], v[24:25], v[54:55]
	v_fmac_f64_e32 v[24:25], -0.5, v[48:49]
	v_add_f64 v[48:49], v[58:59], -v[54:55]
	v_add_f64 v[68:69], v[62:63], -v[64:65]
	v_add_f64 v[68:69], v[48:49], v[68:69]
	v_fma_f64 v[48:49], s[8:9], v[66:67], v[24:25]
	v_fmac_f64_e32 v[24:25], s[12:13], v[66:67]
	v_fmac_f64_e32 v[48:49], s[0:1], v[46:47]
	;; [unrolled: 1-line block ×3, first 2 shown]
	v_add_f64 v[42:43], v[42:43], v[58:59]
	v_add_f64 v[46:47], v[26:27], v[50:51]
	v_add_f64 v[42:43], v[42:43], v[62:63]
	v_add_f64 v[46:47], v[46:47], v[52:53]
	v_add_f64 v[46:47], v[46:47], v[56:57]
	v_add_f64 v[66:67], v[42:43], v[64:65]
	v_add_f64 v[42:43], v[52:53], v[56:57]
	v_fmac_f64_e32 v[48:49], s[2:3], v[68:69]
	v_fmac_f64_e32 v[24:25], s[2:3], v[68:69]
	v_add_f64 v[68:69], v[46:47], v[60:61]
	v_fma_f64 v[42:43], -0.5, v[42:43], v[26:27]
	v_add_f64 v[54:55], v[54:55], -v[64:65]
	v_add_f64 v[58:59], v[58:59], -v[62:63]
	;; [unrolled: 1-line block ×4, first 2 shown]
	v_add_f64 v[62:63], v[46:47], v[62:63]
	v_fma_f64 v[46:47], s[8:9], v[54:55], v[42:43]
	v_fmac_f64_e32 v[42:43], s[12:13], v[54:55]
	v_fmac_f64_e32 v[46:47], s[14:15], v[58:59]
	;; [unrolled: 1-line block ×5, first 2 shown]
	v_add_f64 v[62:63], v[50:51], v[60:61]
	v_fmac_f64_e32 v[26:27], -0.5, v[62:63]
	v_add_f64 v[50:51], v[52:53], -v[50:51]
	v_add_f64 v[52:53], v[56:57], -v[60:61]
	v_add_f64 v[52:53], v[50:51], v[52:53]
	v_fma_f64 v[50:51], s[12:13], v[58:59], v[26:27]
	v_fmac_f64_e32 v[26:27], s[8:9], v[58:59]
	v_fmac_f64_e32 v[50:51], s[14:15], v[54:55]
	v_fmac_f64_e32 v[26:27], s[0:1], v[54:55]
	v_fmac_f64_e32 v[50:51], s[2:3], v[52:53]
	v_fmac_f64_e32 v[26:27], s[2:3], v[52:53]
	ds_write_b128 v195, v[84:87]
	ds_write_b128 v195, v[80:83] offset:208
	ds_write_b128 v195, v[36:39] offset:416
	;; [unrolled: 1-line block ×4, first 2 shown]
	ds_write_b128 v197, v[66:69]
	ds_write_b128 v197, v[44:47] offset:208
	ds_write_b128 v197, v[48:51] offset:416
	;; [unrolled: 1-line block ×4, first 2 shown]
	s_waitcnt lgkmcnt(0)
	s_barrier
	ds_read_b128 v[28:31], v182 offset:5200
	ds_read_b128 v[32:35], v182 offset:10400
	;; [unrolled: 1-line block ×10, first 2 shown]
	s_waitcnt lgkmcnt(9)
	v_mul_f64 v[52:53], v[126:127], v[30:31]
	v_fmac_f64_e32 v[52:53], v[124:125], v[28:29]
	v_mul_f64 v[28:29], v[126:127], v[28:29]
	v_fma_f64 v[56:57], v[124:125], v[30:31], -v[28:29]
	s_waitcnt lgkmcnt(8)
	v_mul_f64 v[28:29], v[114:115], v[32:33]
	v_fma_f64 v[80:81], v[112:113], v[34:35], -v[28:29]
	s_waitcnt lgkmcnt(4)
	v_mul_f64 v[28:29], v[126:127], v[48:49]
	v_fma_f64 v[58:59], v[124:125], v[50:51], -v[28:29]
	ds_read_b128 v[28:31], v182 offset:15600
	v_mul_f64 v[74:75], v[114:115], v[34:35]
	v_fmac_f64_e32 v[74:75], v[112:113], v[32:33]
	v_mul_f64 v[68:69], v[114:115], v[38:39]
	v_mul_f64 v[32:33], v[114:115], v[36:37]
	v_fmac_f64_e32 v[68:69], v[112:113], v[36:37]
	v_fma_f64 v[64:65], v[112:113], v[38:39], -v[32:33]
	ds_read_b128 v[36:39], v182 offset:14560
	s_waitcnt lgkmcnt(1)
	v_mul_f64 v[84:85], v[110:111], v[30:31]
	v_fmac_f64_e32 v[84:85], v[108:109], v[28:29]
	v_mul_f64 v[28:29], v[110:111], v[28:29]
	v_fma_f64 v[136:137], v[108:109], v[30:31], -v[28:29]
	v_mul_f64 v[28:29], v[106:107], v[40:41]
	v_fma_f64 v[140:141], v[104:105], v[42:43], -v[28:29]
	v_mul_f64 v[28:29], v[110:111], v[70:71]
	v_mul_f64 v[78:79], v[106:107], v[46:47]
	;; [unrolled: 1-line block ×4, first 2 shown]
	v_fma_f64 v[66:67], v[108:109], v[72:73], -v[28:29]
	v_fmac_f64_e32 v[78:79], v[104:105], v[44:45]
	v_mul_f64 v[28:29], v[106:107], v[44:45]
	v_accvgpr_read_b32 v42, a152
	v_fmac_f64_e32 v[76:77], v[108:109], v[70:71]
	v_fma_f64 v[70:71], v[104:105], v[46:47], -v[28:29]
	ds_read_b128 v[28:31], v182 offset:12480
	ds_read_b128 v[32:35], v182 offset:13520
	v_accvgpr_read_b32 v44, a154
	v_accvgpr_read_b32 v45, a155
	v_fmac_f64_e32 v[138:139], v[104:105], v[40:41]
	v_accvgpr_read_b32 v43, a153
	v_mul_f64 v[82:83], v[44:45], v[62:63]
	v_mul_f64 v[40:41], v[44:45], v[60:61]
	v_fmac_f64_e32 v[82:83], v[42:43], v[60:61]
	v_fma_f64 v[86:87], v[42:43], v[62:63], -v[40:41]
	v_accvgpr_read_b32 v40, a144
	v_mul_f64 v[54:55], v[126:127], v[50:51]
	v_accvgpr_read_b32 v42, a146
	v_accvgpr_read_b32 v43, a147
	v_fmac_f64_e32 v[54:55], v[124:125], v[48:49]
	v_accvgpr_read_b32 v41, a145
	s_waitcnt lgkmcnt(1)
	v_mul_f64 v[100:101], v[42:43], v[30:31]
	v_accvgpr_read_b32 v46, a136
	v_fmac_f64_e32 v[100:101], v[40:41], v[28:29]
	v_mul_f64 v[28:29], v[42:43], v[28:29]
	v_accvgpr_read_b32 v48, a138
	v_accvgpr_read_b32 v49, a139
	v_fma_f64 v[92:93], v[40:41], v[30:31], -v[28:29]
	ds_read_b128 v[28:31], v182 offset:22880
	ds_read_b128 v[40:43], v182 offset:23920
	v_accvgpr_read_b32 v47, a137
	v_mul_f64 v[104:105], v[48:49], v[90:91]
	v_mul_f64 v[44:45], v[48:49], v[88:89]
	v_fmac_f64_e32 v[104:105], v[46:47], v[88:89]
	v_fma_f64 v[94:95], v[46:47], v[90:91], -v[44:45]
	ds_read_b128 v[44:47], v182 offset:8320
	v_accvgpr_read_b32 v48, a128
	v_accvgpr_read_b32 v50, a130
	;; [unrolled: 1-line block ×4, first 2 shown]
	s_waitcnt lgkmcnt(2)
	v_mul_f64 v[106:107], v[50:51], v[30:31]
	v_accvgpr_read_b32 v60, a168
	v_fmac_f64_e32 v[106:107], v[48:49], v[28:29]
	v_mul_f64 v[28:29], v[50:51], v[28:29]
	v_accvgpr_read_b32 v62, a170
	v_accvgpr_read_b32 v63, a171
	v_fma_f64 v[96:97], v[48:49], v[30:31], -v[28:29]
	ds_read_b128 v[48:51], v182 offset:9360
	v_accvgpr_read_b32 v61, a169
	s_waitcnt lgkmcnt(1)
	v_mul_f64 v[98:99], v[62:63], v[46:47]
	v_mul_f64 v[28:29], v[62:63], v[44:45]
	v_fmac_f64_e32 v[98:99], v[60:61], v[44:45]
	v_fma_f64 v[102:103], v[60:61], v[46:47], -v[28:29]
	v_accvgpr_read_b32 v44, a164
	v_accvgpr_read_b32 v46, a166
	;; [unrolled: 1-line block ×3, first 2 shown]
	ds_read_b128 v[28:31], v182 offset:18720
	v_accvgpr_read_b32 v45, a165
	v_mul_f64 v[116:117], v[46:47], v[34:35]
	v_fmac_f64_e32 v[116:117], v[44:45], v[32:33]
	v_mul_f64 v[32:33], v[46:47], v[32:33]
	v_fma_f64 v[108:109], v[44:45], v[34:35], -v[32:33]
	ds_read_b128 v[44:47], v182 offset:19760
	v_accvgpr_read_b32 v32, a160
	v_accvgpr_read_b32 v34, a162
	;; [unrolled: 1-line block ×4, first 2 shown]
	s_waitcnt lgkmcnt(1)
	v_mul_f64 v[120:121], v[34:35], v[30:31]
	v_fmac_f64_e32 v[120:121], v[32:33], v[28:29]
	v_mul_f64 v[28:29], v[34:35], v[28:29]
	v_fma_f64 v[110:111], v[32:33], v[30:31], -v[28:29]
	v_accvgpr_read_b32 v30, a156
	v_accvgpr_read_b32 v32, a158
	v_accvgpr_read_b32 v33, a159
	v_accvgpr_read_b32 v60, a186
	v_accvgpr_read_b32 v31, a157
	v_mul_f64 v[122:123], v[32:33], v[42:43]
	v_accvgpr_read_b32 v62, a188
	v_accvgpr_read_b32 v63, a189
	v_fmac_f64_e32 v[122:123], v[30:31], v[40:41]
	v_mul_f64 v[28:29], v[32:33], v[40:41]
	v_accvgpr_read_b32 v61, a187
	v_mul_f64 v[114:115], v[62:63], v[50:51]
	v_mul_f64 v[40:41], v[62:63], v[48:49]
	v_fmac_f64_e32 v[114:115], v[60:61], v[48:49]
	v_fma_f64 v[118:119], v[60:61], v[50:51], -v[40:41]
	v_accvgpr_read_b32 v48, a182
	v_accvgpr_read_b32 v50, a184
	;; [unrolled: 1-line block ×4, first 2 shown]
	v_mul_f64 v[128:129], v[50:51], v[38:39]
	v_fmac_f64_e32 v[128:129], v[48:49], v[36:37]
	v_mul_f64 v[36:37], v[50:51], v[36:37]
	v_fma_f64 v[112:113], v[30:31], v[42:43], -v[28:29]
	ds_read_b128 v[32:35], v182
	ds_read_b128 v[28:31], v182 offset:1040
	ds_read_b128 v[40:43], v182 offset:24960
	v_fma_f64 v[124:125], v[48:49], v[38:39], -v[36:37]
	v_accvgpr_read_b32 v48, a178
	v_accvgpr_read_b32 v50, a180
	;; [unrolled: 1-line block ×4, first 2 shown]
	s_waitcnt lgkmcnt(3)
	v_mul_f64 v[132:133], v[50:51], v[46:47]
	v_mul_f64 v[36:37], v[50:51], v[44:45]
	v_fmac_f64_e32 v[132:133], v[48:49], v[44:45]
	v_fma_f64 v[126:127], v[48:49], v[46:47], -v[36:37]
	v_accvgpr_read_b32 v44, a174
	v_accvgpr_read_b32 v46, a176
	;; [unrolled: 1-line block ×4, first 2 shown]
	s_waitcnt lgkmcnt(0)
	v_mul_f64 v[36:37], v[46:47], v[40:41]
	v_mul_f64 v[134:135], v[46:47], v[42:43]
	v_fma_f64 v[130:131], v[44:45], v[42:43], -v[36:37]
	v_add_f64 v[36:37], v[74:75], v[84:85]
	v_fmac_f64_e32 v[134:135], v[44:45], v[40:41]
	v_fma_f64 v[36:37], -0.5, v[36:37], v[32:33]
	v_add_f64 v[42:43], v[56:57], -v[140:141]
	v_add_f64 v[40:41], v[52:53], -v[74:75]
	v_add_f64 v[46:47], v[138:139], -v[84:85]
	v_fma_f64 v[44:45], s[12:13], v[42:43], v[36:37]
	v_add_f64 v[40:41], v[40:41], v[46:47]
	v_add_f64 v[46:47], v[80:81], -v[136:137]
	v_fmac_f64_e32 v[36:37], s[8:9], v[42:43]
	v_fmac_f64_e32 v[44:45], s[0:1], v[46:47]
	;; [unrolled: 1-line block ×5, first 2 shown]
	v_add_f64 v[40:41], v[52:53], v[138:139]
	v_add_f64 v[38:39], v[32:33], v[52:53]
	v_fmac_f64_e32 v[32:33], -0.5, v[40:41]
	v_add_f64 v[40:41], v[74:75], -v[52:53]
	v_add_f64 v[48:49], v[84:85], -v[138:139]
	v_add_f64 v[48:49], v[40:41], v[48:49]
	v_fma_f64 v[40:41], s[8:9], v[46:47], v[32:33]
	v_fmac_f64_e32 v[32:33], s[12:13], v[46:47]
	v_add_f64 v[38:39], v[38:39], v[74:75]
	v_fmac_f64_e32 v[40:41], s[0:1], v[42:43]
	v_fmac_f64_e32 v[32:33], s[14:15], v[42:43]
	v_add_f64 v[38:39], v[38:39], v[84:85]
	v_add_f64 v[42:43], v[34:35], v[56:57]
	;; [unrolled: 1-line block ×5, first 2 shown]
	v_fmac_f64_e32 v[40:41], s[2:3], v[48:49]
	v_fmac_f64_e32 v[32:33], s[2:3], v[48:49]
	v_add_f64 v[42:43], v[42:43], v[136:137]
	v_fma_f64 v[38:39], -0.5, v[38:39], v[34:35]
	v_add_f64 v[48:49], v[52:53], -v[138:139]
	v_add_f64 v[62:63], v[42:43], v[140:141]
	v_fma_f64 v[46:47], s[8:9], v[48:49], v[38:39]
	v_add_f64 v[50:51], v[74:75], -v[84:85]
	v_add_f64 v[42:43], v[56:57], -v[80:81]
	;; [unrolled: 1-line block ×3, first 2 shown]
	v_fmac_f64_e32 v[38:39], s[12:13], v[48:49]
	v_fmac_f64_e32 v[46:47], s[14:15], v[50:51]
	v_add_f64 v[42:43], v[42:43], v[52:53]
	v_fmac_f64_e32 v[38:39], s[0:1], v[50:51]
	v_fmac_f64_e32 v[46:47], s[2:3], v[42:43]
	;; [unrolled: 1-line block ×3, first 2 shown]
	v_add_f64 v[42:43], v[56:57], v[140:141]
	v_fmac_f64_e32 v[34:35], -0.5, v[42:43]
	v_fma_f64 v[42:43], s[12:13], v[50:51], v[34:35]
	v_fmac_f64_e32 v[34:35], s[8:9], v[50:51]
	v_fmac_f64_e32 v[42:43], s[14:15], v[48:49]
	v_add_f64 v[52:53], v[80:81], -v[56:57]
	v_add_f64 v[56:57], v[136:137], -v[140:141]
	v_fmac_f64_e32 v[34:35], s[0:1], v[48:49]
	v_add_f64 v[48:49], v[68:69], v[76:77]
	v_add_f64 v[52:53], v[52:53], v[56:57]
	v_fma_f64 v[48:49], -0.5, v[48:49], v[28:29]
	v_add_f64 v[72:73], v[58:59], -v[70:71]
	v_add_f64 v[56:57], v[54:55], -v[68:69]
	;; [unrolled: 1-line block ×3, first 2 shown]
	v_fmac_f64_e32 v[42:43], s[2:3], v[52:53]
	v_fmac_f64_e32 v[34:35], s[2:3], v[52:53]
	v_fma_f64 v[52:53], s[12:13], v[72:73], v[48:49]
	v_add_f64 v[56:57], v[56:57], v[74:75]
	v_add_f64 v[74:75], v[64:65], -v[66:67]
	v_fmac_f64_e32 v[48:49], s[8:9], v[72:73]
	v_fmac_f64_e32 v[52:53], s[0:1], v[74:75]
	;; [unrolled: 1-line block ×5, first 2 shown]
	v_add_f64 v[56:57], v[54:55], v[78:79]
	v_add_f64 v[50:51], v[28:29], v[54:55]
	v_fmac_f64_e32 v[28:29], -0.5, v[56:57]
	v_add_f64 v[56:57], v[68:69], -v[54:55]
	v_add_f64 v[80:81], v[76:77], -v[78:79]
	v_add_f64 v[80:81], v[56:57], v[80:81]
	v_fma_f64 v[56:57], s[8:9], v[74:75], v[28:29]
	v_fmac_f64_e32 v[28:29], s[12:13], v[74:75]
	v_fmac_f64_e32 v[56:57], s[0:1], v[72:73]
	v_fmac_f64_e32 v[28:29], s[14:15], v[72:73]
	v_add_f64 v[50:51], v[50:51], v[68:69]
	v_add_f64 v[72:73], v[30:31], v[58:59]
	;; [unrolled: 1-line block ×7, first 2 shown]
	v_fma_f64 v[50:51], -0.5, v[50:51], v[30:31]
	v_add_f64 v[78:79], v[54:55], -v[78:79]
	v_fmac_f64_e32 v[56:57], s[2:3], v[80:81]
	v_fmac_f64_e32 v[28:29], s[2:3], v[80:81]
	v_fma_f64 v[54:55], s[8:9], v[78:79], v[50:51]
	v_add_f64 v[76:77], v[68:69], -v[76:77]
	v_add_f64 v[68:69], v[58:59], -v[64:65]
	;; [unrolled: 1-line block ×3, first 2 shown]
	v_fmac_f64_e32 v[50:51], s[12:13], v[78:79]
	v_fmac_f64_e32 v[54:55], s[14:15], v[76:77]
	v_add_f64 v[68:69], v[68:69], v[80:81]
	v_fmac_f64_e32 v[50:51], s[0:1], v[76:77]
	v_fmac_f64_e32 v[54:55], s[2:3], v[68:69]
	;; [unrolled: 1-line block ×3, first 2 shown]
	v_add_f64 v[68:69], v[58:59], v[70:71]
	v_add_f64 v[74:75], v[74:75], v[70:71]
	v_fmac_f64_e32 v[30:31], -0.5, v[68:69]
	v_add_f64 v[80:81], v[64:65], -v[58:59]
	v_add_f64 v[84:85], v[66:67], -v[70:71]
	ds_read_b128 v[68:71], v182 offset:2080
	ds_read_b128 v[64:67], v182 offset:3120
	v_fma_f64 v[58:59], s[12:13], v[76:77], v[30:31]
	v_fmac_f64_e32 v[30:31], s[8:9], v[76:77]
	v_fmac_f64_e32 v[58:59], s[14:15], v[78:79]
	v_add_f64 v[80:81], v[80:81], v[84:85]
	v_fmac_f64_e32 v[30:31], s[0:1], v[78:79]
	v_add_f64 v[76:77], v[100:101], v[104:105]
	v_fmac_f64_e32 v[58:59], s[2:3], v[80:81]
	v_fmac_f64_e32 v[30:31], s[2:3], v[80:81]
	s_waitcnt lgkmcnt(1)
	v_fma_f64 v[76:77], -0.5, v[76:77], v[68:69]
	v_add_f64 v[78:79], v[82:83], -v[100:101]
	v_add_f64 v[80:81], v[106:107], -v[104:105]
	;; [unrolled: 1-line block ×3, first 2 shown]
	v_add_f64 v[78:79], v[78:79], v[80:81]
	v_add_f64 v[90:91], v[92:93], -v[94:95]
	v_fma_f64 v[80:81], s[12:13], v[88:89], v[76:77]
	v_fmac_f64_e32 v[76:77], s[8:9], v[88:89]
	v_fmac_f64_e32 v[80:81], s[0:1], v[90:91]
	;; [unrolled: 1-line block ×3, first 2 shown]
	v_add_f64 v[84:85], v[82:83], v[106:107]
	v_fmac_f64_e32 v[80:81], s[2:3], v[78:79]
	v_fmac_f64_e32 v[76:77], s[2:3], v[78:79]
	v_add_f64 v[78:79], v[68:69], v[82:83]
	v_fmac_f64_e32 v[68:69], -0.5, v[84:85]
	v_add_f64 v[84:85], v[100:101], -v[82:83]
	v_add_f64 v[136:137], v[104:105], -v[106:107]
	v_add_f64 v[136:137], v[84:85], v[136:137]
	v_fma_f64 v[84:85], s[8:9], v[90:91], v[68:69]
	v_fmac_f64_e32 v[68:69], s[12:13], v[90:91]
	v_fmac_f64_e32 v[84:85], s[0:1], v[88:89]
	;; [unrolled: 1-line block ×3, first 2 shown]
	v_add_f64 v[78:79], v[78:79], v[100:101]
	v_add_f64 v[88:89], v[70:71], v[86:87]
	;; [unrolled: 1-line block ×7, first 2 shown]
	v_fma_f64 v[78:79], -0.5, v[78:79], v[70:71]
	v_add_f64 v[106:107], v[82:83], -v[106:107]
	v_add_f64 v[100:101], v[100:101], -v[104:105]
	;; [unrolled: 1-line block ×4, first 2 shown]
	v_add_f64 v[104:105], v[82:83], v[104:105]
	v_fma_f64 v[82:83], s[8:9], v[106:107], v[78:79]
	v_fmac_f64_e32 v[78:79], s[12:13], v[106:107]
	v_fmac_f64_e32 v[82:83], s[14:15], v[100:101]
	;; [unrolled: 1-line block ×5, first 2 shown]
	v_add_f64 v[104:105], v[86:87], v[96:97]
	v_fmac_f64_e32 v[70:71], -0.5, v[104:105]
	v_add_f64 v[92:93], v[92:93], -v[86:87]
	v_add_f64 v[94:95], v[94:95], -v[96:97]
	v_fma_f64 v[86:87], s[12:13], v[100:101], v[70:71]
	v_fmac_f64_e32 v[70:71], s[8:9], v[100:101]
	v_fmac_f64_e32 v[86:87], s[14:15], v[106:107]
	v_add_f64 v[92:93], v[92:93], v[94:95]
	v_fmac_f64_e32 v[70:71], s[0:1], v[106:107]
	v_fmac_f64_e32 v[86:87], s[2:3], v[92:93]
	;; [unrolled: 1-line block ×3, first 2 shown]
	v_add_f64 v[92:93], v[116:117], v[120:121]
	v_add_f64 v[90:91], v[90:91], v[96:97]
	s_waitcnt lgkmcnt(0)
	v_fma_f64 v[92:93], -0.5, v[92:93], v[64:65]
	v_add_f64 v[94:95], v[98:99], -v[116:117]
	v_add_f64 v[96:97], v[122:123], -v[120:121]
	;; [unrolled: 1-line block ×3, first 2 shown]
	v_add_f64 v[94:95], v[94:95], v[96:97]
	v_add_f64 v[106:107], v[108:109], -v[110:111]
	v_fma_f64 v[96:97], s[12:13], v[104:105], v[92:93]
	v_fmac_f64_e32 v[92:93], s[8:9], v[104:105]
	v_fmac_f64_e32 v[96:97], s[0:1], v[106:107]
	;; [unrolled: 1-line block ×3, first 2 shown]
	v_add_f64 v[100:101], v[98:99], v[122:123]
	v_fmac_f64_e32 v[84:85], s[2:3], v[136:137]
	v_fmac_f64_e32 v[68:69], s[2:3], v[136:137]
	v_fmac_f64_e32 v[96:97], s[2:3], v[94:95]
	v_fmac_f64_e32 v[92:93], s[2:3], v[94:95]
	v_add_f64 v[94:95], v[64:65], v[98:99]
	v_fmac_f64_e32 v[64:65], -0.5, v[100:101]
	v_add_f64 v[100:101], v[116:117], -v[98:99]
	v_add_f64 v[136:137], v[120:121], -v[122:123]
	v_add_f64 v[136:137], v[100:101], v[136:137]
	v_fma_f64 v[100:101], s[8:9], v[106:107], v[64:65]
	v_fmac_f64_e32 v[64:65], s[12:13], v[106:107]
	v_fmac_f64_e32 v[100:101], s[0:1], v[104:105]
	;; [unrolled: 1-line block ×3, first 2 shown]
	v_add_f64 v[94:95], v[94:95], v[116:117]
	v_add_f64 v[104:105], v[66:67], v[102:103]
	;; [unrolled: 1-line block ×7, first 2 shown]
	v_fma_f64 v[94:95], -0.5, v[94:95], v[66:67]
	v_add_f64 v[122:123], v[98:99], -v[122:123]
	v_add_f64 v[116:117], v[116:117], -v[120:121]
	;; [unrolled: 1-line block ×4, first 2 shown]
	v_add_f64 v[120:121], v[98:99], v[120:121]
	v_fma_f64 v[98:99], s[8:9], v[122:123], v[94:95]
	v_fmac_f64_e32 v[94:95], s[12:13], v[122:123]
	v_fmac_f64_e32 v[98:99], s[14:15], v[116:117]
	;; [unrolled: 1-line block ×5, first 2 shown]
	v_add_f64 v[120:121], v[102:103], v[112:113]
	v_fmac_f64_e32 v[66:67], -0.5, v[120:121]
	v_add_f64 v[108:109], v[108:109], -v[102:103]
	v_add_f64 v[110:111], v[110:111], -v[112:113]
	v_fma_f64 v[102:103], s[12:13], v[116:117], v[66:67]
	v_fmac_f64_e32 v[66:67], s[8:9], v[116:117]
	v_fmac_f64_e32 v[102:103], s[14:15], v[122:123]
	v_add_f64 v[108:109], v[108:109], v[110:111]
	v_fmac_f64_e32 v[66:67], s[0:1], v[122:123]
	v_fmac_f64_e32 v[102:103], s[2:3], v[108:109]
	;; [unrolled: 1-line block ×3, first 2 shown]
	v_add_f64 v[108:109], v[128:129], v[132:133]
	v_add_f64 v[106:107], v[106:107], v[112:113]
	v_fma_f64 v[108:109], -0.5, v[108:109], v[24:25]
	v_add_f64 v[110:111], v[114:115], -v[128:129]
	v_add_f64 v[112:113], v[134:135], -v[132:133]
	;; [unrolled: 1-line block ×3, first 2 shown]
	v_add_f64 v[110:111], v[110:111], v[112:113]
	v_add_f64 v[122:123], v[124:125], -v[126:127]
	v_fma_f64 v[112:113], s[12:13], v[120:121], v[108:109]
	v_fmac_f64_e32 v[108:109], s[8:9], v[120:121]
	v_fmac_f64_e32 v[112:113], s[0:1], v[122:123]
	;; [unrolled: 1-line block ×3, first 2 shown]
	v_add_f64 v[116:117], v[114:115], v[134:135]
	v_fmac_f64_e32 v[100:101], s[2:3], v[136:137]
	v_fmac_f64_e32 v[64:65], s[2:3], v[136:137]
	;; [unrolled: 1-line block ×4, first 2 shown]
	v_add_f64 v[110:111], v[24:25], v[114:115]
	v_fmac_f64_e32 v[24:25], -0.5, v[116:117]
	v_add_f64 v[116:117], v[128:129], -v[114:115]
	v_add_f64 v[136:137], v[132:133], -v[134:135]
	v_add_f64 v[136:137], v[116:117], v[136:137]
	v_fma_f64 v[116:117], s[8:9], v[122:123], v[24:25]
	v_fmac_f64_e32 v[24:25], s[12:13], v[122:123]
	v_fmac_f64_e32 v[116:117], s[0:1], v[120:121]
	;; [unrolled: 1-line block ×3, first 2 shown]
	v_add_f64 v[110:111], v[110:111], v[128:129]
	v_add_f64 v[120:121], v[26:27], v[118:119]
	;; [unrolled: 1-line block ×7, first 2 shown]
	v_fma_f64 v[110:111], -0.5, v[110:111], v[26:27]
	v_add_f64 v[134:135], v[114:115], -v[134:135]
	v_add_f64 v[128:129], v[128:129], -v[132:133]
	v_add_f64 v[114:115], v[118:119], -v[124:125]
	v_add_f64 v[132:133], v[130:131], -v[126:127]
	v_add_f64 v[132:133], v[114:115], v[132:133]
	v_fma_f64 v[114:115], s[8:9], v[134:135], v[110:111]
	v_fmac_f64_e32 v[110:111], s[12:13], v[134:135]
	v_fmac_f64_e32 v[114:115], s[14:15], v[128:129]
	;; [unrolled: 1-line block ×5, first 2 shown]
	v_add_f64 v[132:133], v[118:119], v[130:131]
	v_fmac_f64_e32 v[26:27], -0.5, v[132:133]
	v_add_f64 v[118:119], v[124:125], -v[118:119]
	v_add_f64 v[124:125], v[126:127], -v[130:131]
	v_add_f64 v[122:123], v[122:123], v[130:131]
	v_add_f64 v[130:131], v[118:119], v[124:125]
	v_fma_f64 v[118:119], s[12:13], v[128:129], v[26:27]
	v_fmac_f64_e32 v[26:27], s[8:9], v[128:129]
	v_fmac_f64_e32 v[118:119], s[14:15], v[134:135]
	;; [unrolled: 1-line block ×7, first 2 shown]
	s_barrier
	ds_write_b128 v182, v[60:63]
	ds_write_b128 v182, v[44:47] offset:1040
	ds_write_b128 v182, v[40:43] offset:2080
	;; [unrolled: 1-line block ×24, first 2 shown]
	s_waitcnt lgkmcnt(0)
	s_barrier
	ds_read_b128 v[24:27], v182
	ds_read_b128 v[28:31], v182 offset:1040
	ds_read_b128 v[44:47], v182 offset:10400
	;; [unrolled: 1-line block ×24, first 2 shown]
	s_waitcnt lgkmcnt(14)
	v_mul_f64 v[148:149], v[206:207], v[54:55]
	v_fmac_f64_e32 v[148:149], v[204:205], v[52:53]
	v_mul_f64 v[52:53], v[206:207], v[52:53]
	v_mul_f64 v[150:151], v[226:227], v[62:63]
	v_fma_f64 v[54:55], v[204:205], v[54:55], -v[52:53]
	v_fmac_f64_e32 v[150:151], v[224:225], v[60:61]
	v_mul_f64 v[52:53], v[226:227], v[60:61]
	v_mul_f64 v[60:61], v[230:231], v[50:51]
	v_fmac_f64_e32 v[60:61], v[228:229], v[48:49]
	v_mul_f64 v[48:49], v[230:231], v[48:49]
	s_waitcnt lgkmcnt(8)
	v_mul_f64 v[138:139], v[214:215], v[94:95]
	v_fma_f64 v[152:153], v[228:229], v[50:51], -v[48:49]
	v_mul_f64 v[48:49], v[222:223], v[68:69]
	v_fmac_f64_e32 v[138:139], v[212:213], v[92:93]
	v_mul_f64 v[92:93], v[214:215], v[92:93]
	v_fma_f64 v[154:155], v[220:221], v[70:71], -v[48:49]
	v_mul_f64 v[156:157], v[218:219], v[58:59]
	v_mul_f64 v[48:49], v[218:219], v[56:57]
	v_fma_f64 v[140:141], v[212:213], v[94:95], -v[92:93]
	v_accvgpr_read_b32 v92, a204
	v_mul_f64 v[50:51], v[222:223], v[70:71]
	v_fmac_f64_e32 v[156:157], v[216:217], v[56:57]
	v_fma_f64 v[56:57], v[216:217], v[58:59], -v[48:49]
	v_mul_f64 v[48:49], v[246:247], v[64:65]
	v_accvgpr_read_b32 v94, a206
	v_accvgpr_read_b32 v95, a207
	v_fmac_f64_e32 v[50:51], v[220:221], v[68:69]
	v_fma_f64 v[68:69], v[244:245], v[66:67], -v[48:49]
	v_mul_f64 v[48:49], v[242:243], v[76:77]
	v_accvgpr_read_b32 v93, a205
	v_mul_f64 v[142:143], v[94:95], v[46:47]
	v_fma_f64 v[52:53], v[224:225], v[62:63], -v[52:53]
	v_mul_f64 v[62:63], v[246:247], v[66:67]
	v_mul_f64 v[66:67], v[242:243], v[78:79]
	v_fma_f64 v[70:71], v[240:241], v[78:79], -v[48:49]
	s_waitcnt lgkmcnt(6)
	v_mul_f64 v[78:79], v[2:3], v[98:99]
	v_mul_f64 v[2:3], v[2:3], v[96:97]
	v_fmac_f64_e32 v[142:143], v[92:93], v[44:45]
	v_mul_f64 v[44:45], v[94:95], v[44:45]
	v_fmac_f64_e32 v[78:79], v[0:1], v[96:97]
	v_fma_f64 v[96:97], v[0:1], v[98:99], -v[2:3]
	v_mul_f64 v[0:1], v[6:7], v[80:81]
	v_fma_f64 v[44:45], v[92:93], v[46:47], -v[44:45]
	s_waitcnt lgkmcnt(4)
	v_mul_f64 v[46:47], v[210:211], v[102:103]
	v_fma_f64 v[98:99], v[4:5], v[82:83], -v[0:1]
	s_waitcnt lgkmcnt(2)
	v_mul_f64 v[0:1], v[254:255], v[120:121]
	v_fmac_f64_e32 v[46:47], v[208:209], v[100:101]
	v_mul_f64 v[92:93], v[210:211], v[100:101]
	v_fma_f64 v[100:101], v[252:253], v[122:123], -v[0:1]
	v_mul_f64 v[0:1], v[250:251], v[88:89]
	v_fma_f64 v[146:147], v[208:209], v[102:103], -v[92:93]
	;; [unrolled: 2-line block ×3, first 2 shown]
	v_mul_f64 v[0:1], v[22:23], v[112:113]
	v_fmac_f64_e32 v[104:105], v[4:5], v[80:81]
	v_fma_f64 v[80:81], v[20:21], v[114:115], -v[0:1]
	v_mul_f64 v[0:1], v[18:19], v[116:117]
	v_fmac_f64_e32 v[66:67], v[240:241], v[76:77]
	v_mul_f64 v[76:77], v[238:239], v[74:75]
	v_mul_f64 v[48:49], v[238:239], v[72:73]
	;; [unrolled: 1-line block ×3, first 2 shown]
	v_fma_f64 v[82:83], v[16:17], v[118:119], -v[0:1]
	s_waitcnt lgkmcnt(1)
	v_mul_f64 v[0:1], v[14:15], v[130:131]
	v_fmac_f64_e32 v[76:77], v[236:237], v[72:73]
	v_fma_f64 v[72:73], v[236:237], v[74:75], -v[48:49]
	v_fmac_f64_e32 v[110:111], v[232:233], v[84:85]
	v_mul_f64 v[48:49], v[234:235], v[84:85]
	v_fma_f64 v[84:85], v[12:13], v[132:133], -v[0:1]
	s_waitcnt lgkmcnt(0)
	v_mul_f64 v[0:1], v[10:11], v[134:135]
	v_fma_f64 v[74:75], v[232:233], v[86:87], -v[48:49]
	v_fma_f64 v[86:87], v[8:9], v[136:137], -v[0:1]
	v_add_f64 v[0:1], v[24:25], v[138:139]
	v_add_f64 v[0:1], v[0:1], v[142:143]
	;; [unrolled: 1-line block ×5, first 2 shown]
	v_mul_f64 v[92:93], v[14:15], v[132:133]
	v_mul_f64 v[94:95], v[10:11], v[136:137]
	v_fma_f64 v[0:1], -0.5, v[0:1], v[24:25]
	v_add_f64 v[2:3], v[140:141], -v[54:55]
	v_fmac_f64_e32 v[92:93], v[12:13], v[130:131]
	v_fmac_f64_e32 v[94:95], v[8:9], v[134:135]
	v_fma_f64 v[8:9], s[12:13], v[2:3], v[0:1]
	v_add_f64 v[6:7], v[44:45], -v[146:147]
	v_add_f64 v[10:11], v[138:139], -v[142:143]
	;; [unrolled: 1-line block ×3, first 2 shown]
	v_fmac_f64_e32 v[0:1], s[8:9], v[2:3]
	v_fmac_f64_e32 v[8:9], s[0:1], v[6:7]
	v_add_f64 v[10:11], v[10:11], v[12:13]
	v_fmac_f64_e32 v[0:1], s[14:15], v[6:7]
	v_fmac_f64_e32 v[8:9], s[2:3], v[10:11]
	;; [unrolled: 1-line block ×3, first 2 shown]
	v_add_f64 v[10:11], v[138:139], v[148:149]
	v_fmac_f64_e32 v[24:25], -0.5, v[10:11]
	v_fma_f64 v[12:13], s[8:9], v[6:7], v[24:25]
	v_fmac_f64_e32 v[24:25], s[12:13], v[6:7]
	v_fmac_f64_e32 v[12:13], s[0:1], v[2:3]
	;; [unrolled: 1-line block ×3, first 2 shown]
	v_add_f64 v[2:3], v[26:27], v[140:141]
	v_add_f64 v[2:3], v[2:3], v[44:45]
	;; [unrolled: 1-line block ×3, first 2 shown]
	v_mul_f64 v[108:109], v[250:251], v[90:91]
	v_mul_f64 v[90:91], v[18:19], v[118:119]
	v_add_f64 v[10:11], v[142:143], -v[138:139]
	v_add_f64 v[14:15], v[46:47], -v[148:149]
	v_add_f64 v[6:7], v[2:3], v[54:55]
	v_add_f64 v[2:3], v[44:45], v[146:147]
	v_fmac_f64_e32 v[108:109], v[248:249], v[88:89]
	v_mul_f64 v[88:89], v[22:23], v[114:115]
	v_fmac_f64_e32 v[90:91], v[16:17], v[116:117]
	v_add_f64 v[10:11], v[10:11], v[14:15]
	v_fma_f64 v[2:3], -0.5, v[2:3], v[26:27]
	v_add_f64 v[16:17], v[138:139], -v[148:149]
	v_fmac_f64_e32 v[88:89], v[20:21], v[112:113]
	v_fmac_f64_e32 v[12:13], s[2:3], v[10:11]
	;; [unrolled: 1-line block ×3, first 2 shown]
	v_fma_f64 v[10:11], s[8:9], v[16:17], v[2:3]
	v_add_f64 v[18:19], v[142:143], -v[46:47]
	v_add_f64 v[14:15], v[140:141], -v[44:45]
	;; [unrolled: 1-line block ×3, first 2 shown]
	v_fmac_f64_e32 v[2:3], s[12:13], v[16:17]
	v_fmac_f64_e32 v[10:11], s[14:15], v[18:19]
	v_add_f64 v[14:15], v[14:15], v[20:21]
	v_fmac_f64_e32 v[2:3], s[0:1], v[18:19]
	v_fmac_f64_e32 v[10:11], s[2:3], v[14:15]
	;; [unrolled: 1-line block ×3, first 2 shown]
	v_add_f64 v[14:15], v[140:141], v[54:55]
	v_fmac_f64_e32 v[26:27], -0.5, v[14:15]
	v_fma_f64 v[14:15], s[12:13], v[18:19], v[26:27]
	v_fmac_f64_e32 v[26:27], s[8:9], v[18:19]
	v_fmac_f64_e32 v[14:15], s[14:15], v[16:17]
	;; [unrolled: 1-line block ×3, first 2 shown]
	v_add_f64 v[16:17], v[28:29], v[150:151]
	v_add_f64 v[20:21], v[44:45], -v[140:141]
	v_add_f64 v[22:23], v[146:147], -v[54:55]
	v_add_f64 v[16:17], v[16:17], v[60:61]
	v_add_f64 v[20:21], v[20:21], v[22:23]
	;; [unrolled: 1-line block ×3, first 2 shown]
	v_fmac_f64_e32 v[14:15], s[2:3], v[20:21]
	v_fmac_f64_e32 v[26:27], s[2:3], v[20:21]
	v_add_f64 v[20:21], v[16:17], v[156:157]
	v_add_f64 v[16:17], v[60:61], v[50:51]
	v_fma_f64 v[16:17], -0.5, v[16:17], v[28:29]
	v_add_f64 v[18:19], v[52:53], -v[56:57]
	v_fma_f64 v[44:45], s[12:13], v[18:19], v[16:17]
	v_add_f64 v[22:23], v[152:153], -v[154:155]
	v_add_f64 v[46:47], v[150:151], -v[60:61]
	;; [unrolled: 1-line block ×3, first 2 shown]
	v_fmac_f64_e32 v[16:17], s[8:9], v[18:19]
	v_fmac_f64_e32 v[44:45], s[0:1], v[22:23]
	v_add_f64 v[46:47], v[46:47], v[48:49]
	v_fmac_f64_e32 v[16:17], s[14:15], v[22:23]
	v_fmac_f64_e32 v[44:45], s[2:3], v[46:47]
	v_fmac_f64_e32 v[16:17], s[2:3], v[46:47]
	v_add_f64 v[46:47], v[150:151], v[156:157]
	v_fmac_f64_e32 v[28:29], -0.5, v[46:47]
	v_fma_f64 v[48:49], s[8:9], v[22:23], v[28:29]
	v_fmac_f64_e32 v[28:29], s[12:13], v[22:23]
	v_fmac_f64_e32 v[48:49], s[0:1], v[18:19]
	;; [unrolled: 1-line block ×3, first 2 shown]
	v_add_f64 v[18:19], v[30:31], v[52:53]
	v_add_f64 v[18:19], v[18:19], v[152:153]
	;; [unrolled: 1-line block ×3, first 2 shown]
	v_add_f64 v[46:47], v[60:61], -v[150:151]
	v_add_f64 v[54:55], v[50:51], -v[156:157]
	v_add_f64 v[22:23], v[18:19], v[56:57]
	v_add_f64 v[18:19], v[152:153], v[154:155]
	;; [unrolled: 1-line block ×3, first 2 shown]
	v_fma_f64 v[18:19], -0.5, v[18:19], v[30:31]
	v_add_f64 v[54:55], v[150:151], -v[156:157]
	v_fmac_f64_e32 v[48:49], s[2:3], v[46:47]
	v_fmac_f64_e32 v[28:29], s[2:3], v[46:47]
	v_fma_f64 v[46:47], s[8:9], v[54:55], v[18:19]
	v_add_f64 v[58:59], v[60:61], -v[50:51]
	v_add_f64 v[50:51], v[52:53], -v[152:153]
	v_add_f64 v[60:61], v[56:57], -v[154:155]
	v_fmac_f64_e32 v[18:19], s[12:13], v[54:55]
	v_fmac_f64_e32 v[46:47], s[14:15], v[58:59]
	v_add_f64 v[50:51], v[50:51], v[60:61]
	v_fmac_f64_e32 v[18:19], s[0:1], v[58:59]
	v_fmac_f64_e32 v[46:47], s[2:3], v[50:51]
	v_fmac_f64_e32 v[18:19], s[2:3], v[50:51]
	v_add_f64 v[50:51], v[52:53], v[56:57]
	v_fmac_f64_e32 v[30:31], -0.5, v[50:51]
	v_fma_f64 v[50:51], s[12:13], v[58:59], v[30:31]
	v_add_f64 v[52:53], v[152:153], -v[52:53]
	v_add_f64 v[56:57], v[154:155], -v[56:57]
	v_fmac_f64_e32 v[30:31], s[8:9], v[58:59]
	v_fmac_f64_e32 v[62:63], v[244:245], v[64:65]
	;; [unrolled: 1-line block ×3, first 2 shown]
	v_add_f64 v[52:53], v[52:53], v[56:57]
	v_fmac_f64_e32 v[30:31], s[0:1], v[54:55]
	v_fmac_f64_e32 v[50:51], s[2:3], v[52:53]
	v_fmac_f64_e32 v[30:31], s[2:3], v[52:53]
	v_add_f64 v[52:53], v[36:37], v[62:63]
	v_add_f64 v[52:53], v[52:53], v[66:67]
	;; [unrolled: 1-line block ×5, first 2 shown]
	v_fma_f64 v[52:53], -0.5, v[52:53], v[36:37]
	v_add_f64 v[54:55], v[68:69], -v[74:75]
	v_fma_f64 v[60:61], s[12:13], v[54:55], v[52:53]
	v_add_f64 v[58:59], v[70:71], -v[72:73]
	v_add_f64 v[64:65], v[62:63], -v[66:67]
	;; [unrolled: 1-line block ×3, first 2 shown]
	v_fmac_f64_e32 v[52:53], s[8:9], v[54:55]
	v_fmac_f64_e32 v[60:61], s[0:1], v[58:59]
	v_add_f64 v[64:65], v[64:65], v[112:113]
	v_fmac_f64_e32 v[52:53], s[14:15], v[58:59]
	v_fmac_f64_e32 v[60:61], s[2:3], v[64:65]
	;; [unrolled: 1-line block ×3, first 2 shown]
	v_add_f64 v[64:65], v[62:63], v[110:111]
	v_fmac_f64_e32 v[36:37], -0.5, v[64:65]
	v_fma_f64 v[64:65], s[8:9], v[58:59], v[36:37]
	v_fmac_f64_e32 v[36:37], s[12:13], v[58:59]
	v_fmac_f64_e32 v[64:65], s[0:1], v[54:55]
	;; [unrolled: 1-line block ×3, first 2 shown]
	v_add_f64 v[54:55], v[38:39], v[68:69]
	v_add_f64 v[54:55], v[54:55], v[70:71]
	;; [unrolled: 1-line block ×3, first 2 shown]
	v_add_f64 v[112:113], v[66:67], -v[62:63]
	v_add_f64 v[114:115], v[76:77], -v[110:111]
	v_add_f64 v[58:59], v[54:55], v[74:75]
	v_add_f64 v[54:55], v[70:71], v[72:73]
	;; [unrolled: 1-line block ×3, first 2 shown]
	v_fma_f64 v[54:55], -0.5, v[54:55], v[38:39]
	v_add_f64 v[110:111], v[62:63], -v[110:111]
	v_fmac_f64_e32 v[64:65], s[2:3], v[112:113]
	v_fmac_f64_e32 v[36:37], s[2:3], v[112:113]
	v_fma_f64 v[62:63], s[8:9], v[110:111], v[54:55]
	v_add_f64 v[76:77], v[66:67], -v[76:77]
	v_add_f64 v[66:67], v[68:69], -v[70:71]
	;; [unrolled: 1-line block ×3, first 2 shown]
	v_fmac_f64_e32 v[54:55], s[12:13], v[110:111]
	v_fmac_f64_e32 v[62:63], s[14:15], v[76:77]
	v_add_f64 v[66:67], v[66:67], v[112:113]
	v_fmac_f64_e32 v[54:55], s[0:1], v[76:77]
	v_fmac_f64_e32 v[62:63], s[2:3], v[66:67]
	;; [unrolled: 1-line block ×3, first 2 shown]
	v_add_f64 v[66:67], v[68:69], v[74:75]
	v_fmac_f64_e32 v[38:39], -0.5, v[66:67]
	v_fma_f64 v[66:67], s[12:13], v[76:77], v[38:39]
	v_add_f64 v[68:69], v[70:71], -v[68:69]
	v_add_f64 v[70:71], v[72:73], -v[74:75]
	v_fmac_f64_e32 v[38:39], s[8:9], v[76:77]
	v_fmac_f64_e32 v[66:67], s[14:15], v[110:111]
	v_add_f64 v[68:69], v[68:69], v[70:71]
	v_fmac_f64_e32 v[38:39], s[0:1], v[110:111]
	v_mul_f64 v[106:107], v[254:255], v[122:123]
	v_fmac_f64_e32 v[66:67], s[2:3], v[68:69]
	v_fmac_f64_e32 v[38:39], s[2:3], v[68:69]
	v_add_f64 v[68:69], v[32:33], v[78:79]
	v_fmac_f64_e32 v[106:107], v[252:253], v[120:121]
	v_add_f64 v[68:69], v[68:69], v[104:105]
	v_add_f64 v[68:69], v[68:69], v[106:107]
	;; [unrolled: 1-line block ×4, first 2 shown]
	v_fma_f64 v[68:69], -0.5, v[68:69], v[32:33]
	v_add_f64 v[70:71], v[96:97], -v[102:103]
	v_fma_f64 v[76:77], s[12:13], v[70:71], v[68:69]
	v_add_f64 v[74:75], v[98:99], -v[100:101]
	v_add_f64 v[110:111], v[78:79], -v[104:105]
	;; [unrolled: 1-line block ×3, first 2 shown]
	v_fmac_f64_e32 v[68:69], s[8:9], v[70:71]
	v_fmac_f64_e32 v[76:77], s[0:1], v[74:75]
	v_add_f64 v[110:111], v[110:111], v[112:113]
	v_fmac_f64_e32 v[68:69], s[14:15], v[74:75]
	v_fmac_f64_e32 v[76:77], s[2:3], v[110:111]
	v_fmac_f64_e32 v[68:69], s[2:3], v[110:111]
	v_add_f64 v[110:111], v[78:79], v[108:109]
	v_fmac_f64_e32 v[32:33], -0.5, v[110:111]
	v_fma_f64 v[110:111], s[8:9], v[74:75], v[32:33]
	v_fmac_f64_e32 v[32:33], s[12:13], v[74:75]
	v_fmac_f64_e32 v[110:111], s[0:1], v[70:71]
	;; [unrolled: 1-line block ×3, first 2 shown]
	v_add_f64 v[70:71], v[34:35], v[96:97]
	v_add_f64 v[70:71], v[70:71], v[98:99]
	;; [unrolled: 1-line block ×3, first 2 shown]
	v_add_f64 v[112:113], v[104:105], -v[78:79]
	v_add_f64 v[114:115], v[106:107], -v[108:109]
	v_add_f64 v[74:75], v[70:71], v[102:103]
	v_add_f64 v[70:71], v[98:99], v[100:101]
	;; [unrolled: 1-line block ×3, first 2 shown]
	v_fma_f64 v[70:71], -0.5, v[70:71], v[34:35]
	v_add_f64 v[108:109], v[78:79], -v[108:109]
	v_fmac_f64_e32 v[110:111], s[2:3], v[112:113]
	v_fmac_f64_e32 v[32:33], s[2:3], v[112:113]
	v_fma_f64 v[78:79], s[8:9], v[108:109], v[70:71]
	v_add_f64 v[104:105], v[104:105], -v[106:107]
	v_add_f64 v[106:107], v[96:97], -v[98:99]
	;; [unrolled: 1-line block ×3, first 2 shown]
	v_fmac_f64_e32 v[70:71], s[12:13], v[108:109]
	v_fmac_f64_e32 v[78:79], s[14:15], v[104:105]
	v_add_f64 v[106:107], v[106:107], v[112:113]
	v_fmac_f64_e32 v[70:71], s[0:1], v[104:105]
	v_fmac_f64_e32 v[78:79], s[2:3], v[106:107]
	;; [unrolled: 1-line block ×3, first 2 shown]
	v_add_f64 v[106:107], v[96:97], v[102:103]
	v_add_f64 v[96:97], v[98:99], -v[96:97]
	v_add_f64 v[98:99], v[100:101], -v[102:103]
	v_fmac_f64_e32 v[34:35], -0.5, v[106:107]
	v_add_f64 v[96:97], v[96:97], v[98:99]
	v_add_f64 v[98:99], v[90:91], v[92:93]
	v_fma_f64 v[112:113], s[12:13], v[104:105], v[34:35]
	v_fmac_f64_e32 v[34:35], s[8:9], v[104:105]
	v_fma_f64 v[100:101], -0.5, v[98:99], v[40:41]
	v_add_f64 v[98:99], v[80:81], -v[86:87]
	v_fmac_f64_e32 v[112:113], s[14:15], v[108:109]
	v_fmac_f64_e32 v[34:35], s[0:1], v[108:109]
	v_fma_f64 v[104:105], s[12:13], v[98:99], v[100:101]
	v_add_f64 v[102:103], v[82:83], -v[84:85]
	v_add_f64 v[106:107], v[88:89], -v[90:91]
	;; [unrolled: 1-line block ×3, first 2 shown]
	v_fmac_f64_e32 v[100:101], s[8:9], v[98:99]
	v_fmac_f64_e32 v[104:105], s[0:1], v[102:103]
	v_add_f64 v[106:107], v[106:107], v[108:109]
	v_fmac_f64_e32 v[100:101], s[14:15], v[102:103]
	v_fmac_f64_e32 v[104:105], s[2:3], v[106:107]
	;; [unrolled: 1-line block ×3, first 2 shown]
	v_add_f64 v[106:107], v[88:89], v[94:95]
	v_fmac_f64_e32 v[112:113], s[2:3], v[96:97]
	v_fmac_f64_e32 v[34:35], s[2:3], v[96:97]
	v_add_f64 v[96:97], v[40:41], v[88:89]
	v_fmac_f64_e32 v[40:41], -0.5, v[106:107]
	v_add_f64 v[96:97], v[96:97], v[90:91]
	v_fma_f64 v[114:115], s[8:9], v[102:103], v[40:41]
	v_add_f64 v[106:107], v[90:91], -v[88:89]
	v_add_f64 v[108:109], v[92:93], -v[94:95]
	v_fmac_f64_e32 v[40:41], s[12:13], v[102:103]
	v_add_f64 v[102:103], v[82:83], v[84:85]
	v_add_f64 v[96:97], v[96:97], v[92:93]
	v_fmac_f64_e32 v[114:115], s[0:1], v[98:99]
	v_add_f64 v[106:107], v[106:107], v[108:109]
	v_fmac_f64_e32 v[40:41], s[14:15], v[98:99]
	v_fma_f64 v[102:103], -0.5, v[102:103], v[42:43]
	v_add_f64 v[88:89], v[88:89], -v[94:95]
	v_add_f64 v[96:97], v[96:97], v[94:95]
	v_fmac_f64_e32 v[114:115], s[2:3], v[106:107]
	v_fmac_f64_e32 v[40:41], s[2:3], v[106:107]
	v_fma_f64 v[106:107], s[8:9], v[88:89], v[102:103]
	v_add_f64 v[90:91], v[90:91], -v[92:93]
	v_add_f64 v[92:93], v[80:81], -v[82:83]
	v_add_f64 v[94:95], v[86:87], -v[84:85]
	v_fmac_f64_e32 v[102:103], s[12:13], v[88:89]
	v_fmac_f64_e32 v[106:107], s[14:15], v[90:91]
	v_add_f64 v[92:93], v[92:93], v[94:95]
	v_fmac_f64_e32 v[102:103], s[0:1], v[90:91]
	v_fmac_f64_e32 v[106:107], s[2:3], v[92:93]
	;; [unrolled: 1-line block ×3, first 2 shown]
	v_add_f64 v[92:93], v[80:81], v[86:87]
	v_add_f64 v[98:99], v[42:43], v[80:81]
	v_fmac_f64_e32 v[42:43], -0.5, v[92:93]
	v_add_f64 v[98:99], v[98:99], v[82:83]
	v_fma_f64 v[116:117], s[12:13], v[90:91], v[42:43]
	v_add_f64 v[80:81], v[82:83], -v[80:81]
	v_add_f64 v[82:83], v[84:85], -v[86:87]
	v_fmac_f64_e32 v[42:43], s[8:9], v[90:91]
	v_add_f64 v[98:99], v[98:99], v[84:85]
	v_fmac_f64_e32 v[116:117], s[14:15], v[88:89]
	v_add_f64 v[80:81], v[80:81], v[82:83]
	v_fmac_f64_e32 v[42:43], s[0:1], v[88:89]
	ds_write_b128 v182, v[4:7]
	ds_write_b128 v166, v[8:11] offset:5200
	ds_write_b128 v166, v[12:15] offset:10400
	ds_write_b128 v166, v[24:27] offset:15600
	ds_write_b128 v166, v[0:3] offset:20800
	ds_write_b128 v166, v[20:23] offset:1040
	ds_write_b128 v166, v[44:47] offset:6240
	ds_write_b128 v166, v[48:51] offset:11440
	ds_write_b128 v166, v[28:31] offset:16640
	ds_write_b128 v166, v[16:19] offset:21840
	ds_write_b128 v166, v[56:59] offset:2080
	v_accvgpr_read_b32 v0, a208
	v_add_f64 v[98:99], v[98:99], v[86:87]
	v_fmac_f64_e32 v[116:117], s[2:3], v[80:81]
	v_fmac_f64_e32 v[42:43], s[2:3], v[80:81]
	ds_write_b128 v0, v[60:63] offset:5200
	ds_write_b128 v0, v[64:67] offset:10400
	;; [unrolled: 1-line block ×14, first 2 shown]
	s_waitcnt lgkmcnt(0)
	s_barrier
	ds_read_b128 v[0:3], v182
	v_accvgpr_read_b32 v158, a2
	v_mov_b32_e32 v124, s10
	v_mov_b32_e32 v125, s11
	v_mad_u64_u32 v[126:127], s[10:11], s6, v158, 0
	v_mov_b32_e32 v128, v127
	v_accvgpr_read_b32 v13, a7
	v_mad_u64_u32 v[4:5], s[0:1], s7, v158, v[128:129]
	v_accvgpr_read_b32 v12, a6
	v_mov_b32_e32 v127, v4
	ds_read_b128 v[4:7], v182 offset:2000
	v_accvgpr_read_b32 v11, a5
	v_accvgpr_read_b32 v10, a4
	s_waitcnt lgkmcnt(1)
	v_mul_f64 v[8:9], v[12:13], v[2:3]
	v_fmac_f64_e32 v[8:9], v[10:11], v[0:1]
	s_mov_b32 s0, 0x6615bd85
	v_mul_f64 v[0:1], v[12:13], v[0:1]
	s_mov_b32 s1, 0x3f442a38
	v_fma_f64 v[0:1], v[10:11], v[2:3], -v[0:1]
	v_mul_f64 v[10:11], v[0:1], s[0:1]
	v_mad_u64_u32 v[0:1], s[2:3], s4, v194, 0
	v_mov_b32_e32 v2, v1
	v_mad_u64_u32 v[2:3], s[2:3], s5, v194, v[2:3]
	v_mov_b32_e32 v1, v2
	v_lshl_add_u64 v[2:3], v[126:127], 4, v[124:125]
	v_mul_f64 v[8:9], v[8:9], s[0:1]
	v_lshl_add_u64 v[12:13], v[0:1], 4, v[2:3]
	global_store_dwordx4 v[12:13], v[8:11], off
	s_mul_i32 s2, s5, 0x7d
	s_mul_hi_u32 s3, s4, 0x7d
	v_accvgpr_read_b32 v8, a20
	v_accvgpr_read_b32 v10, a22
	;; [unrolled: 1-line block ×4, first 2 shown]
	s_waitcnt lgkmcnt(0)
	v_mul_f64 v[0:1], v[10:11], v[6:7]
	v_mul_f64 v[2:3], v[10:11], v[4:5]
	v_fmac_f64_e32 v[0:1], v[8:9], v[4:5]
	v_fma_f64 v[2:3], v[8:9], v[6:7], -v[2:3]
	ds_read_b128 v[4:7], v182 offset:4000
	s_add_i32 s3, s3, s2
	s_mul_i32 s2, s4, 0x7d
	s_lshl_b64 s[2:3], s[2:3], 4
	v_accvgpr_read_b32 v17, a11
	v_mul_f64 v[0:1], v[0:1], s[0:1]
	v_mul_f64 v[2:3], v[2:3], s[0:1]
	v_lshl_add_u64 v[12:13], v[12:13], 0, s[2:3]
	v_accvgpr_read_b32 v16, a10
	global_store_dwordx4 v[12:13], v[0:3], off
	ds_read_b128 v[0:3], v182 offset:6000
	v_accvgpr_read_b32 v15, a9
	v_accvgpr_read_b32 v14, a8
	s_waitcnt lgkmcnt(1)
	v_mul_f64 v[8:9], v[16:17], v[6:7]
	v_fmac_f64_e32 v[8:9], v[14:15], v[4:5]
	v_mul_f64 v[4:5], v[16:17], v[4:5]
	v_fma_f64 v[4:5], v[14:15], v[6:7], -v[4:5]
	v_mul_f64 v[8:9], v[8:9], s[0:1]
	v_mul_f64 v[10:11], v[4:5], s[0:1]
	v_lshl_add_u64 v[12:13], v[12:13], 0, s[2:3]
	global_store_dwordx4 v[12:13], v[8:11], off
	v_accvgpr_read_b32 v6, a40
	v_accvgpr_read_b32 v7, a41
	;; [unrolled: 1-line block ×4, first 2 shown]
	s_waitcnt lgkmcnt(0)
	v_mul_f64 v[4:5], v[8:9], v[2:3]
	v_fmac_f64_e32 v[4:5], v[6:7], v[0:1]
	v_mul_f64 v[0:1], v[8:9], v[0:1]
	v_fma_f64 v[6:7], v[6:7], v[2:3], -v[0:1]
	ds_read_b128 v[0:3], v182 offset:8000
	v_accvgpr_read_b32 v17, a15
	v_mul_f64 v[4:5], v[4:5], s[0:1]
	v_mul_f64 v[6:7], v[6:7], s[0:1]
	v_lshl_add_u64 v[12:13], v[12:13], 0, s[2:3]
	v_accvgpr_read_b32 v16, a14
	global_store_dwordx4 v[12:13], v[4:7], off
	ds_read_b128 v[4:7], v182 offset:10000
	v_accvgpr_read_b32 v15, a13
	v_accvgpr_read_b32 v14, a12
	s_waitcnt lgkmcnt(1)
	v_mul_f64 v[8:9], v[16:17], v[2:3]
	v_fmac_f64_e32 v[8:9], v[14:15], v[0:1]
	v_mul_f64 v[0:1], v[16:17], v[0:1]
	v_fma_f64 v[0:1], v[14:15], v[2:3], -v[0:1]
	v_mul_f64 v[8:9], v[8:9], s[0:1]
	v_mul_f64 v[10:11], v[0:1], s[0:1]
	v_lshl_add_u64 v[12:13], v[12:13], 0, s[2:3]
	global_store_dwordx4 v[12:13], v[8:11], off
	v_accvgpr_read_b32 v14, a16
	v_lshl_add_u64 v[12:13], v[12:13], 0, s[2:3]
	v_accvgpr_read_b32 v8, a44
	v_accvgpr_read_b32 v10, a46
	;; [unrolled: 1-line block ×4, first 2 shown]
	s_waitcnt lgkmcnt(0)
	v_mul_f64 v[0:1], v[10:11], v[6:7]
	v_mul_f64 v[2:3], v[10:11], v[4:5]
	v_fmac_f64_e32 v[0:1], v[8:9], v[4:5]
	v_fma_f64 v[2:3], v[8:9], v[6:7], -v[2:3]
	ds_read_b128 v[4:7], v182 offset:12000
	v_mul_f64 v[0:1], v[0:1], s[0:1]
	v_mul_f64 v[2:3], v[2:3], s[0:1]
	v_accvgpr_read_b32 v16, a18
	v_accvgpr_read_b32 v17, a19
	global_store_dwordx4 v[12:13], v[0:3], off
	ds_read_b128 v[0:3], v182 offset:14000
	v_accvgpr_read_b32 v15, a17
	s_waitcnt lgkmcnt(1)
	v_mul_f64 v[8:9], v[16:17], v[6:7]
	v_fmac_f64_e32 v[8:9], v[14:15], v[4:5]
	v_mul_f64 v[4:5], v[16:17], v[4:5]
	v_fma_f64 v[4:5], v[14:15], v[6:7], -v[4:5]
	v_mul_f64 v[8:9], v[8:9], s[0:1]
	v_mul_f64 v[10:11], v[4:5], s[0:1]
	v_lshl_add_u64 v[12:13], v[12:13], 0, s[2:3]
	global_store_dwordx4 v[12:13], v[8:11], off
	v_accvgpr_read_b32 v6, a48
	v_accvgpr_read_b32 v7, a49
	;; [unrolled: 1-line block ×4, first 2 shown]
	s_waitcnt lgkmcnt(0)
	v_mul_f64 v[4:5], v[8:9], v[2:3]
	v_fmac_f64_e32 v[4:5], v[6:7], v[0:1]
	v_mul_f64 v[0:1], v[8:9], v[0:1]
	v_fma_f64 v[6:7], v[6:7], v[2:3], -v[0:1]
	ds_read_b128 v[0:3], v182 offset:16000
	v_accvgpr_read_b32 v14, a24
	v_mul_f64 v[4:5], v[4:5], s[0:1]
	v_mul_f64 v[6:7], v[6:7], s[0:1]
	v_lshl_add_u64 v[12:13], v[12:13], 0, s[2:3]
	v_accvgpr_read_b32 v16, a26
	v_accvgpr_read_b32 v17, a27
	global_store_dwordx4 v[12:13], v[4:7], off
	ds_read_b128 v[4:7], v182 offset:18000
	v_accvgpr_read_b32 v15, a25
	s_waitcnt lgkmcnt(1)
	v_mul_f64 v[8:9], v[16:17], v[2:3]
	v_fmac_f64_e32 v[8:9], v[14:15], v[0:1]
	v_mul_f64 v[0:1], v[16:17], v[0:1]
	v_fma_f64 v[0:1], v[14:15], v[2:3], -v[0:1]
	v_mul_f64 v[8:9], v[8:9], s[0:1]
	v_mul_f64 v[10:11], v[0:1], s[0:1]
	v_lshl_add_u64 v[12:13], v[12:13], 0, s[2:3]
	global_store_dwordx4 v[12:13], v[8:11], off
	v_accvgpr_read_b32 v14, a28
	v_lshl_add_u64 v[12:13], v[12:13], 0, s[2:3]
	v_accvgpr_read_b32 v8, a52
	v_accvgpr_read_b32 v10, a54
	;; [unrolled: 1-line block ×4, first 2 shown]
	s_waitcnt lgkmcnt(0)
	v_mul_f64 v[0:1], v[10:11], v[6:7]
	v_mul_f64 v[2:3], v[10:11], v[4:5]
	v_fmac_f64_e32 v[0:1], v[8:9], v[4:5]
	v_fma_f64 v[2:3], v[8:9], v[6:7], -v[2:3]
	ds_read_b128 v[4:7], v182 offset:20000
	v_mul_f64 v[0:1], v[0:1], s[0:1]
	v_mul_f64 v[2:3], v[2:3], s[0:1]
	v_accvgpr_read_b32 v16, a30
	v_accvgpr_read_b32 v17, a31
	global_store_dwordx4 v[12:13], v[0:3], off
	ds_read_b128 v[0:3], v182 offset:22000
	v_accvgpr_read_b32 v15, a29
	s_waitcnt lgkmcnt(1)
	v_mul_f64 v[8:9], v[16:17], v[6:7]
	v_fmac_f64_e32 v[8:9], v[14:15], v[4:5]
	v_mul_f64 v[4:5], v[16:17], v[4:5]
	v_fma_f64 v[4:5], v[14:15], v[6:7], -v[4:5]
	v_mul_f64 v[8:9], v[8:9], s[0:1]
	v_mul_f64 v[10:11], v[4:5], s[0:1]
	v_lshl_add_u64 v[12:13], v[12:13], 0, s[2:3]
	global_store_dwordx4 v[12:13], v[8:11], off
	v_accvgpr_read_b32 v6, a32
	v_accvgpr_read_b32 v7, a33
	;; [unrolled: 1-line block ×4, first 2 shown]
	s_waitcnt lgkmcnt(0)
	v_mul_f64 v[4:5], v[8:9], v[2:3]
	v_fmac_f64_e32 v[4:5], v[6:7], v[0:1]
	v_mul_f64 v[0:1], v[8:9], v[0:1]
	ds_read_b128 v[8:11], v182 offset:24000
	v_fma_f64 v[0:1], v[6:7], v[2:3], -v[0:1]
	v_mul_f64 v[6:7], v[0:1], s[0:1]
	v_lshl_add_u64 v[0:1], v[12:13], 0, s[2:3]
	v_accvgpr_read_b32 v12, a36
	v_mul_f64 v[4:5], v[4:5], s[0:1]
	v_accvgpr_read_b32 v14, a38
	v_accvgpr_read_b32 v15, a39
	global_store_dwordx4 v[0:1], v[4:7], off
	v_accvgpr_read_b32 v13, a37
	s_waitcnt lgkmcnt(0)
	v_mul_f64 v[2:3], v[14:15], v[10:11]
	v_mul_f64 v[4:5], v[14:15], v[8:9]
	v_fmac_f64_e32 v[2:3], v[12:13], v[8:9]
	v_fma_f64 v[4:5], v[12:13], v[10:11], -v[4:5]
	v_mul_f64 v[2:3], v[2:3], s[0:1]
	v_mul_f64 v[4:5], v[4:5], s[0:1]
	v_lshl_add_u64 v[0:1], v[0:1], 0, s[2:3]
	global_store_dwordx4 v[0:1], v[2:5], off
	s_and_b64 exec, exec, vcc
	s_cbranch_execz .LBB0_15
; %bb.14:
	global_load_dwordx4 v[2:5], v[144:145], off offset:1040
	ds_read_b128 v[6:9], v166 offset:1040
	v_mov_b32_e32 v10, 0xffffa650
	s_mulk_i32 s5, 0xa650
	v_mad_u64_u32 v[12:13], s[6:7], s4, v10, v[0:1]
	s_sub_i32 s4, s5, s4
	v_add_u32_e32 v13, s4, v13
	s_movk_i32 s4, 0x1000
	v_add_co_u32_e32 v14, vcc, s4, v144
	s_movk_i32 s4, 0x2000
	s_nop 0
	v_addc_co_u32_e32 v15, vcc, 0, v145, vcc
	s_waitcnt vmcnt(0) lgkmcnt(0)
	v_mul_f64 v[0:1], v[8:9], v[4:5]
	v_mul_f64 v[4:5], v[6:7], v[4:5]
	v_fmac_f64_e32 v[0:1], v[6:7], v[2:3]
	v_fma_f64 v[2:3], v[2:3], v[8:9], -v[4:5]
	v_mul_f64 v[0:1], v[0:1], s[0:1]
	v_mul_f64 v[2:3], v[2:3], s[0:1]
	global_store_dwordx4 v[12:13], v[0:3], off
	global_load_dwordx4 v[0:3], v[144:145], off offset:3040
	ds_read_b128 v[4:7], v182 offset:3040
	ds_read_b128 v[8:11], v182 offset:5040
	v_lshl_add_u64 v[12:13], v[12:13], 0, s[2:3]
	s_waitcnt vmcnt(0) lgkmcnt(1)
	v_mul_f64 v[16:17], v[6:7], v[2:3]
	v_mul_f64 v[2:3], v[4:5], v[2:3]
	v_fmac_f64_e32 v[16:17], v[4:5], v[0:1]
	v_fma_f64 v[2:3], v[0:1], v[6:7], -v[2:3]
	v_mul_f64 v[0:1], v[16:17], s[0:1]
	v_mul_f64 v[2:3], v[2:3], s[0:1]
	global_store_dwordx4 v[12:13], v[0:3], off
	global_load_dwordx4 v[0:3], v[14:15], off offset:944
	v_lshl_add_u64 v[12:13], v[12:13], 0, s[2:3]
	s_waitcnt vmcnt(0) lgkmcnt(0)
	v_mul_f64 v[4:5], v[10:11], v[2:3]
	v_mul_f64 v[2:3], v[8:9], v[2:3]
	v_fmac_f64_e32 v[4:5], v[8:9], v[0:1]
	v_fma_f64 v[2:3], v[0:1], v[10:11], -v[2:3]
	v_mul_f64 v[0:1], v[4:5], s[0:1]
	v_mul_f64 v[2:3], v[2:3], s[0:1]
	global_store_dwordx4 v[12:13], v[0:3], off
	global_load_dwordx4 v[0:3], v[14:15], off offset:2944
	ds_read_b128 v[4:7], v182 offset:7040
	ds_read_b128 v[8:11], v182 offset:9040
	v_add_co_u32_e32 v14, vcc, s4, v144
	v_lshl_add_u64 v[12:13], v[12:13], 0, s[2:3]
	s_nop 0
	v_addc_co_u32_e32 v15, vcc, 0, v145, vcc
	s_movk_i32 s4, 0x3000
	s_waitcnt vmcnt(0) lgkmcnt(1)
	v_mul_f64 v[16:17], v[6:7], v[2:3]
	v_mul_f64 v[2:3], v[4:5], v[2:3]
	v_fmac_f64_e32 v[16:17], v[4:5], v[0:1]
	v_fma_f64 v[2:3], v[0:1], v[6:7], -v[2:3]
	v_mul_f64 v[0:1], v[16:17], s[0:1]
	v_mul_f64 v[2:3], v[2:3], s[0:1]
	global_store_dwordx4 v[12:13], v[0:3], off
	global_load_dwordx4 v[0:3], v[14:15], off offset:848
	v_lshl_add_u64 v[12:13], v[12:13], 0, s[2:3]
	s_waitcnt vmcnt(0) lgkmcnt(0)
	v_mul_f64 v[4:5], v[10:11], v[2:3]
	v_mul_f64 v[2:3], v[8:9], v[2:3]
	v_fmac_f64_e32 v[4:5], v[8:9], v[0:1]
	v_fma_f64 v[2:3], v[0:1], v[10:11], -v[2:3]
	v_mul_f64 v[0:1], v[4:5], s[0:1]
	v_mul_f64 v[2:3], v[2:3], s[0:1]
	global_store_dwordx4 v[12:13], v[0:3], off
	global_load_dwordx4 v[0:3], v[14:15], off offset:2848
	ds_read_b128 v[4:7], v182 offset:11040
	ds_read_b128 v[8:11], v182 offset:13040
	v_add_co_u32_e32 v14, vcc, s4, v144
	v_lshl_add_u64 v[12:13], v[12:13], 0, s[2:3]
	s_nop 0
	v_addc_co_u32_e32 v15, vcc, 0, v145, vcc
	s_movk_i32 s4, 0x4000
	;; [unrolled: 26-line block ×4, first 2 shown]
	s_waitcnt vmcnt(0) lgkmcnt(1)
	v_mul_f64 v[16:17], v[6:7], v[2:3]
	v_mul_f64 v[2:3], v[4:5], v[2:3]
	v_fmac_f64_e32 v[16:17], v[4:5], v[0:1]
	v_fma_f64 v[2:3], v[0:1], v[6:7], -v[2:3]
	v_mul_f64 v[0:1], v[16:17], s[0:1]
	v_mul_f64 v[2:3], v[2:3], s[0:1]
	global_store_dwordx4 v[12:13], v[0:3], off
	global_load_dwordx4 v[0:3], v[14:15], off offset:560
	v_lshl_add_u64 v[12:13], v[12:13], 0, s[2:3]
	s_waitcnt vmcnt(0) lgkmcnt(0)
	v_mul_f64 v[4:5], v[10:11], v[2:3]
	v_mul_f64 v[2:3], v[8:9], v[2:3]
	v_fmac_f64_e32 v[4:5], v[8:9], v[0:1]
	v_fma_f64 v[2:3], v[0:1], v[10:11], -v[2:3]
	v_mul_f64 v[0:1], v[4:5], s[0:1]
	v_mul_f64 v[2:3], v[2:3], s[0:1]
	global_store_dwordx4 v[12:13], v[0:3], off
	global_load_dwordx4 v[0:3], v[14:15], off offset:2560
	ds_read_b128 v[4:7], v182 offset:23040
	ds_read_b128 v[8:11], v182 offset:25040
	v_add_co_u32_e32 v14, vcc, s4, v144
	v_lshl_add_u64 v[12:13], v[12:13], 0, s[2:3]
	s_nop 0
	v_addc_co_u32_e32 v15, vcc, 0, v145, vcc
	s_waitcnt vmcnt(0) lgkmcnt(1)
	v_mul_f64 v[16:17], v[6:7], v[2:3]
	v_mul_f64 v[2:3], v[4:5], v[2:3]
	v_fmac_f64_e32 v[16:17], v[4:5], v[0:1]
	v_fma_f64 v[2:3], v[0:1], v[6:7], -v[2:3]
	v_mul_f64 v[0:1], v[16:17], s[0:1]
	v_mul_f64 v[2:3], v[2:3], s[0:1]
	global_store_dwordx4 v[12:13], v[0:3], off
	global_load_dwordx4 v[0:3], v[14:15], off offset:464
	s_waitcnt vmcnt(0) lgkmcnt(0)
	v_mul_f64 v[4:5], v[10:11], v[2:3]
	v_mul_f64 v[2:3], v[8:9], v[2:3]
	v_fmac_f64_e32 v[4:5], v[8:9], v[0:1]
	v_fma_f64 v[2:3], v[0:1], v[10:11], -v[2:3]
	v_mul_f64 v[0:1], v[4:5], s[0:1]
	v_mul_f64 v[2:3], v[2:3], s[0:1]
	v_lshl_add_u64 v[4:5], v[12:13], 0, s[2:3]
	global_store_dwordx4 v[4:5], v[0:3], off
.LBB0_15:
	s_endpgm
	.section	.rodata,"a",@progbits
	.p2align	6, 0x0
	.amdhsa_kernel bluestein_single_back_len1625_dim1_dp_op_CI_CI
		.amdhsa_group_segment_fixed_size 52000
		.amdhsa_private_segment_fixed_size 0
		.amdhsa_kernarg_size 104
		.amdhsa_user_sgpr_count 2
		.amdhsa_user_sgpr_dispatch_ptr 0
		.amdhsa_user_sgpr_queue_ptr 0
		.amdhsa_user_sgpr_kernarg_segment_ptr 1
		.amdhsa_user_sgpr_dispatch_id 0
		.amdhsa_user_sgpr_kernarg_preload_length 0
		.amdhsa_user_sgpr_kernarg_preload_offset 0
		.amdhsa_user_sgpr_private_segment_size 0
		.amdhsa_uses_dynamic_stack 0
		.amdhsa_enable_private_segment 0
		.amdhsa_system_sgpr_workgroup_id_x 1
		.amdhsa_system_sgpr_workgroup_id_y 0
		.amdhsa_system_sgpr_workgroup_id_z 0
		.amdhsa_system_sgpr_workgroup_info 0
		.amdhsa_system_vgpr_workitem_id 0
		.amdhsa_next_free_vgpr 465
		.amdhsa_next_free_sgpr 50
		.amdhsa_accum_offset 256
		.amdhsa_reserve_vcc 1
		.amdhsa_float_round_mode_32 0
		.amdhsa_float_round_mode_16_64 0
		.amdhsa_float_denorm_mode_32 3
		.amdhsa_float_denorm_mode_16_64 3
		.amdhsa_dx10_clamp 1
		.amdhsa_ieee_mode 1
		.amdhsa_fp16_overflow 0
		.amdhsa_tg_split 0
		.amdhsa_exception_fp_ieee_invalid_op 0
		.amdhsa_exception_fp_denorm_src 0
		.amdhsa_exception_fp_ieee_div_zero 0
		.amdhsa_exception_fp_ieee_overflow 0
		.amdhsa_exception_fp_ieee_underflow 0
		.amdhsa_exception_fp_ieee_inexact 0
		.amdhsa_exception_int_div_zero 0
	.end_amdhsa_kernel
	.text
.Lfunc_end0:
	.size	bluestein_single_back_len1625_dim1_dp_op_CI_CI, .Lfunc_end0-bluestein_single_back_len1625_dim1_dp_op_CI_CI
                                        ; -- End function
	.section	.AMDGPU.csdata,"",@progbits
; Kernel info:
; codeLenInByte = 41948
; NumSgprs: 56
; NumVgprs: 256
; NumAgprs: 209
; TotalNumVgprs: 465
; ScratchSize: 0
; MemoryBound: 0
; FloatMode: 240
; IeeeMode: 1
; LDSByteSize: 52000 bytes/workgroup (compile time only)
; SGPRBlocks: 6
; VGPRBlocks: 58
; NumSGPRsForWavesPerEU: 56
; NumVGPRsForWavesPerEU: 465
; AccumOffset: 256
; Occupancy: 1
; WaveLimiterHint : 1
; COMPUTE_PGM_RSRC2:SCRATCH_EN: 0
; COMPUTE_PGM_RSRC2:USER_SGPR: 2
; COMPUTE_PGM_RSRC2:TRAP_HANDLER: 0
; COMPUTE_PGM_RSRC2:TGID_X_EN: 1
; COMPUTE_PGM_RSRC2:TGID_Y_EN: 0
; COMPUTE_PGM_RSRC2:TGID_Z_EN: 0
; COMPUTE_PGM_RSRC2:TIDIG_COMP_CNT: 0
; COMPUTE_PGM_RSRC3_GFX90A:ACCUM_OFFSET: 63
; COMPUTE_PGM_RSRC3_GFX90A:TG_SPLIT: 0
	.text
	.p2alignl 6, 3212836864
	.fill 256, 4, 3212836864
	.type	__hip_cuid_98760e59dbfbd66f,@object ; @__hip_cuid_98760e59dbfbd66f
	.section	.bss,"aw",@nobits
	.globl	__hip_cuid_98760e59dbfbd66f
__hip_cuid_98760e59dbfbd66f:
	.byte	0                               ; 0x0
	.size	__hip_cuid_98760e59dbfbd66f, 1

	.ident	"AMD clang version 19.0.0git (https://github.com/RadeonOpenCompute/llvm-project roc-6.4.0 25133 c7fe45cf4b819c5991fe208aaa96edf142730f1d)"
	.section	".note.GNU-stack","",@progbits
	.addrsig
	.addrsig_sym __hip_cuid_98760e59dbfbd66f
	.amdgpu_metadata
---
amdhsa.kernels:
  - .agpr_count:     209
    .args:
      - .actual_access:  read_only
        .address_space:  global
        .offset:         0
        .size:           8
        .value_kind:     global_buffer
      - .actual_access:  read_only
        .address_space:  global
        .offset:         8
        .size:           8
        .value_kind:     global_buffer
      - .actual_access:  read_only
        .address_space:  global
        .offset:         16
        .size:           8
        .value_kind:     global_buffer
      - .actual_access:  read_only
        .address_space:  global
        .offset:         24
        .size:           8
        .value_kind:     global_buffer
      - .actual_access:  read_only
        .address_space:  global
        .offset:         32
        .size:           8
        .value_kind:     global_buffer
      - .offset:         40
        .size:           8
        .value_kind:     by_value
      - .address_space:  global
        .offset:         48
        .size:           8
        .value_kind:     global_buffer
      - .address_space:  global
        .offset:         56
        .size:           8
        .value_kind:     global_buffer
      - .address_space:  global
        .offset:         64
        .size:           8
        .value_kind:     global_buffer
      - .address_space:  global
        .offset:         72
        .size:           8
        .value_kind:     global_buffer
      - .offset:         80
        .size:           4
        .value_kind:     by_value
      - .address_space:  global
        .offset:         88
        .size:           8
        .value_kind:     global_buffer
      - .address_space:  global
        .offset:         96
        .size:           8
        .value_kind:     global_buffer
    .group_segment_fixed_size: 52000
    .kernarg_segment_align: 8
    .kernarg_segment_size: 104
    .language:       OpenCL C
    .language_version:
      - 2
      - 0
    .max_flat_workgroup_size: 130
    .name:           bluestein_single_back_len1625_dim1_dp_op_CI_CI
    .private_segment_fixed_size: 0
    .sgpr_count:     56
    .sgpr_spill_count: 0
    .symbol:         bluestein_single_back_len1625_dim1_dp_op_CI_CI.kd
    .uniform_work_group_size: 1
    .uses_dynamic_stack: false
    .vgpr_count:     465
    .vgpr_spill_count: 0
    .wavefront_size: 64
amdhsa.target:   amdgcn-amd-amdhsa--gfx950
amdhsa.version:
  - 1
  - 2
...

	.end_amdgpu_metadata
